;; amdgpu-corpus repo=ROCm/bitsandbytes kind=harvested arch=n/a opt=n/a
	.text
	.amdgcn_target "amdgcn-amd-amdhsa--gfx1100"
	.amdhsa_code_object_version 6
	.protected	_Z21kOptimizer32bit2StateI12hip_bfloat16Li0EEvPT_S2_PfS3_S3_ffffffffiffbi ; -- Begin function _Z21kOptimizer32bit2StateI12hip_bfloat16Li0EEvPT_S2_PfS3_S3_ffffffffiffbi
	.globl	_Z21kOptimizer32bit2StateI12hip_bfloat16Li0EEvPT_S2_PfS3_S3_ffffffffiffbi
	.p2align	8
	.type	_Z21kOptimizer32bit2StateI12hip_bfloat16Li0EEvPT_S2_PfS3_S3_ffffffffiffbi,@function
_Z21kOptimizer32bit2StateI12hip_bfloat16Li0EEvPT_S2_PfS3_S3_ffffffffiffbi: ; @_Z21kOptimizer32bit2StateI12hip_bfloat16Li0EEvPT_S2_PfS3_S3_ffffffffiffbi
; %bb.0:
	s_clause 0x3
	s_load_b128 s[8:11], s[0:1], 0x28
	s_load_b64 s[2:3], s[0:1], 0x20
	s_load_b256 s[16:23], s[0:1], 0x0
	s_load_b32 s4, s[0:1], 0x6c
	v_mov_b32_e32 v1, 1.0
	s_waitcnt lgkmcnt(0)
	v_cmp_ngt_f32_e64 s5, s8, 0
	s_delay_alu instid0(VALU_DEP_1)
	s_and_b32 vcc_lo, exec_lo, s5
	s_cbranch_vccnz .LBB70_3
; %bb.1:
	s_load_b32 s2, s[2:3], 0x0
	s_waitcnt lgkmcnt(0)
	v_mul_f32_e64 v1, 0x4f800000, s2
	v_cmp_gt_f32_e64 vcc_lo, 0xf800000, s2
	s_delay_alu instid0(VALU_DEP_2) | instskip(NEXT) | instid1(VALU_DEP_1)
	v_cndmask_b32_e32 v1, s2, v1, vcc_lo
	v_sqrt_f32_e32 v2, v1
	s_waitcnt_depctr 0xfff
	v_add_nc_u32_e32 v4, 1, v2
	v_add_nc_u32_e32 v3, -1, v2
	s_delay_alu instid0(VALU_DEP_2) | instskip(NEXT) | instid1(VALU_DEP_2)
	v_fma_f32 v6, -v4, v2, v1
	v_fma_f32 v5, -v3, v2, v1
	s_delay_alu instid0(VALU_DEP_1) | instskip(NEXT) | instid1(VALU_DEP_1)
	v_cmp_ge_f32_e64 s2, 0, v5
	v_cndmask_b32_e64 v2, v2, v3, s2
	s_delay_alu instid0(VALU_DEP_4) | instskip(NEXT) | instid1(VALU_DEP_1)
	v_cmp_lt_f32_e64 s2, 0, v6
	v_cndmask_b32_e64 v2, v2, v4, s2
	s_delay_alu instid0(VALU_DEP_1) | instskip(NEXT) | instid1(VALU_DEP_1)
	v_mul_f32_e32 v3, 0x37800000, v2
	v_cndmask_b32_e32 v3, v2, v3, vcc_lo
	v_cmp_class_f32_e64 vcc_lo, v1, 0x260
	v_mul_f32_e64 v2, s8, s9
	s_delay_alu instid0(VALU_DEP_3) | instskip(SKIP_1) | instid1(VALU_DEP_2)
	v_cndmask_b32_e32 v3, v3, v1, vcc_lo
	v_mov_b32_e32 v1, 1.0
	v_cmp_ngt_f32_e32 vcc_lo, v3, v2
	s_cbranch_vccnz .LBB70_3
; %bb.2:
	v_div_scale_f32 v1, null, v3, v3, v2
	s_delay_alu instid0(VALU_DEP_1) | instskip(SKIP_2) | instid1(VALU_DEP_1)
	v_rcp_f32_e32 v4, v1
	s_waitcnt_depctr 0xfff
	v_fma_f32 v5, -v1, v4, 1.0
	v_fmac_f32_e32 v4, v5, v4
	v_div_scale_f32 v5, vcc_lo, v2, v3, v2
	s_delay_alu instid0(VALU_DEP_1) | instskip(NEXT) | instid1(VALU_DEP_1)
	v_mul_f32_e32 v6, v5, v4
	v_fma_f32 v7, -v1, v6, v5
	s_delay_alu instid0(VALU_DEP_1) | instskip(NEXT) | instid1(VALU_DEP_1)
	v_fmac_f32_e32 v6, v7, v4
	v_fma_f32 v1, -v1, v6, v5
	s_delay_alu instid0(VALU_DEP_1) | instskip(NEXT) | instid1(VALU_DEP_1)
	v_div_fmas_f32 v1, v1, v4, v6
	v_div_fixup_f32 v1, v1, v3, v2
.LBB70_3:
	s_load_b128 s[24:27], s[0:1], 0x50
	s_waitcnt lgkmcnt(0)
	s_ashr_i32 s2, s26, 31
	s_and_b32 s3, s26, 0xfff
	s_lshr_b32 s2, s2, 20
	s_delay_alu instid0(SALU_CYCLE_1) | instskip(NEXT) | instid1(SALU_CYCLE_1)
	s_add_i32 s2, s26, s2
	s_and_b32 s2, s2, 0xfffff000
	s_cmp_lg_u32 s3, 0
	s_cselect_b32 s3, -1, 0
	s_and_b32 s4, 0xffff, s4
	v_cndmask_b32_e64 v2, 0, 1, s3
	s_mul_i32 s15, s15, s4
	s_delay_alu instid0(SALU_CYCLE_1) | instskip(NEXT) | instid1(VALU_DEP_1)
	s_lshl_b32 s8, s15, 2
	v_readfirstlane_b32 s3, v2
	s_delay_alu instid0(VALU_DEP_1) | instskip(NEXT) | instid1(SALU_CYCLE_1)
	s_lshl_b32 s27, s3, 12
	s_add_i32 s27, s27, s2
	s_delay_alu instid0(SALU_CYCLE_1)
	s_cmp_ge_u32 s8, s27
	s_cbranch_scc1 .LBB70_130
; %bb.4:
	s_load_b128 s[12:15], s[0:1], 0x40
	v_cmp_neq_f32_e64 vcc_lo, s11, 1.0
	s_mov_b32 s5, 0x3e76c4e1
	s_bitcmp1_b32 s25, 0
	s_mov_b32 s9, 0
	s_cselect_b32 s7, -1, 0
                                        ; implicit-def: $vgpr48
                                        ; implicit-def: $vgpr45
                                        ; implicit-def: $vgpr46
                                        ; implicit-def: $vgpr47
	s_waitcnt lgkmcnt(0)
	v_cvt_f32_i32_e32 v2, s14
	v_cmp_gt_f32_e64 s14, s13, 0
	v_fma_f32 v44, -s13, s15, 1.0
	s_sub_i32 s13, s26, s8
	s_delay_alu instid0(VALU_DEP_3) | instskip(SKIP_1) | instid1(VALU_DEP_2)
	v_cndmask_b32_e32 v6, 1.0, v2, vcc_lo
	v_cmp_neq_f32_e64 vcc_lo, s10, 1.0
	v_cmp_eq_f32_e64 s2, 0, v6
	s_delay_alu instid0(VALU_DEP_1) | instskip(NEXT) | instid1(VALU_DEP_1)
	v_cndmask_b32_e64 v7, |s11|, 1.0, s2
	v_frexp_mant_f32_e32 v3, v7
	s_delay_alu instid0(VALU_DEP_1) | instskip(NEXT) | instid1(VALU_DEP_1)
	v_cmp_gt_f32_e64 s3, 0x3f2aaaab, v3
	v_cndmask_b32_e64 v4, 1.0, 2.0, s3
	s_delay_alu instid0(VALU_DEP_1) | instskip(NEXT) | instid1(VALU_DEP_1)
	v_dual_mul_f32 v4, v3, v4 :: v_dual_cndmask_b32 v3, 1.0, v2
	v_add_f32_e32 v5, 1.0, v4
	s_delay_alu instid0(VALU_DEP_2) | instskip(NEXT) | instid1(VALU_DEP_2)
	v_cmp_eq_f32_e32 vcc_lo, 0, v3
	v_add_f32_e32 v11, -1.0, v5
	v_rcp_f32_e32 v8, v5
	v_add_f32_e32 v9, -1.0, v4
	v_cndmask_b32_e64 v2, |s10|, 1.0, vcc_lo
	s_waitcnt_depctr 0xfff
	v_mul_f32_e32 v10, v9, v8
	s_delay_alu instid0(VALU_DEP_1) | instskip(SKIP_1) | instid1(VALU_DEP_2)
	v_mul_f32_e32 v12, v5, v10
	v_sub_f32_e32 v4, v4, v11
	v_fma_f32 v5, v10, v5, -v12
	s_delay_alu instid0(VALU_DEP_1) | instskip(SKIP_1) | instid1(VALU_DEP_1)
	v_fmac_f32_e32 v5, v10, v4
	v_frexp_mant_f32_e32 v4, v2
	v_cmp_gt_f32_e64 s4, 0x3f2aaaab, v4
	s_delay_alu instid0(VALU_DEP_1) | instskip(NEXT) | instid1(VALU_DEP_1)
	v_cndmask_b32_e64 v13, 1.0, 2.0, s4
	v_mul_f32_e32 v4, v4, v13
	s_delay_alu instid0(VALU_DEP_1) | instskip(SKIP_1) | instid1(VALU_DEP_1)
	v_add_f32_e32 v13, 1.0, v4
	v_add_f32_e32 v11, v12, v5
	v_sub_f32_e32 v14, v9, v11
	s_delay_alu instid0(VALU_DEP_1) | instskip(NEXT) | instid1(VALU_DEP_1)
	v_sub_f32_e32 v9, v9, v14
	v_dual_sub_f32 v9, v9, v11 :: v_dual_sub_f32 v12, v11, v12
	v_rcp_f32_e32 v11, v13
	s_delay_alu instid0(VALU_DEP_1) | instskip(NEXT) | instid1(VALU_DEP_1)
	v_sub_f32_e32 v5, v12, v5
	v_add_f32_e32 v5, v5, v9
	s_delay_alu instid0(VALU_DEP_1) | instskip(NEXT) | instid1(VALU_DEP_1)
	v_add_f32_e32 v5, v14, v5
	v_dual_add_f32 v9, -1.0, v4 :: v_dual_mul_f32 v8, v8, v5
	s_waitcnt_depctr 0xfff
	v_dual_mul_f32 v12, v9, v11 :: v_dual_add_f32 v15, v10, v8
	s_delay_alu instid0(VALU_DEP_1) | instskip(NEXT) | instid1(VALU_DEP_2)
	v_mul_f32_e32 v14, v13, v12
	v_dual_sub_f32 v10, v15, v10 :: v_dual_add_f32 v5, -1.0, v13
	s_delay_alu instid0(VALU_DEP_2) | instskip(NEXT) | instid1(VALU_DEP_2)
	v_fma_f32 v13, v12, v13, -v14
	v_sub_f32_e32 v8, v8, v10
	s_delay_alu instid0(VALU_DEP_3) | instskip(SKIP_1) | instid1(VALU_DEP_3)
	v_sub_f32_e32 v16, v4, v5
	v_cvt_f64_f32_e32 v[4:5], v7
	v_add_f32_e32 v18, v8, v8
	s_delay_alu instid0(VALU_DEP_3) | instskip(NEXT) | instid1(VALU_DEP_1)
	v_dual_fmac_f32 v13, v12, v16 :: v_dual_mul_f32 v16, v15, v15
	v_fma_f32 v17, v15, v15, -v16
	s_delay_alu instid0(VALU_DEP_1) | instskip(NEXT) | instid1(VALU_DEP_1)
	v_dual_add_f32 v10, v14, v13 :: v_dual_fmac_f32 v17, v15, v18
	v_sub_f32_e32 v19, v9, v10
	v_sub_f32_e32 v14, v10, v14
	s_delay_alu instid0(VALU_DEP_2) | instskip(NEXT) | instid1(VALU_DEP_2)
	v_dual_add_f32 v18, v16, v17 :: v_dual_sub_f32 v9, v9, v19
	v_sub_f32_e32 v13, v14, v13
	s_delay_alu instid0(VALU_DEP_2) | instskip(NEXT) | instid1(VALU_DEP_1)
	v_sub_f32_e32 v9, v9, v10
	v_dual_fmaak_f32 v10, s5, v18, 0x3e91f4c4 :: v_dual_add_f32 v9, v13, v9
	s_delay_alu instid0(VALU_DEP_1) | instskip(SKIP_1) | instid1(VALU_DEP_2)
	v_fmaak_f32 v10, v18, v10, 0x3ecccdef
	v_sub_f32_e32 v13, v18, v16
	v_dual_add_f32 v9, v19, v9 :: v_dual_mul_f32 v14, v18, v10
	v_frexp_exp_i32_f64_e32 v16, v[4:5]
	v_cvt_f64_f32_e32 v[4:5], v2
	s_delay_alu instid0(VALU_DEP_3) | instskip(SKIP_2) | instid1(VALU_DEP_1)
	v_mul_f32_e32 v9, v11, v9
	v_sub_f32_e32 v11, v17, v13
	v_fma_f32 v13, v18, v10, -v14
	v_fmac_f32_e32 v13, v11, v10
	s_delay_alu instid0(VALU_DEP_1) | instskip(NEXT) | instid1(VALU_DEP_1)
	v_add_f32_e32 v19, v14, v13
	v_sub_f32_e32 v14, v19, v14
	v_dual_add_f32 v20, 0x3f2aaaaa, v19 :: v_dual_add_f32 v17, v12, v9
	s_delay_alu instid0(VALU_DEP_1) | instskip(NEXT) | instid1(VALU_DEP_2)
	v_dual_sub_f32 v13, v13, v14 :: v_dual_add_f32 v14, 0xbf2aaaaa, v20
	v_sub_f32_e32 v10, v17, v12
	v_dual_mul_f32 v12, v17, v17 :: v_dual_mul_f32 v21, v15, v18
	s_delay_alu instid0(VALU_DEP_2) | instskip(NEXT) | instid1(VALU_DEP_2)
	v_sub_f32_e32 v9, v9, v10
	v_fma_f32 v10, v17, v17, -v12
	s_delay_alu instid0(VALU_DEP_3) | instskip(NEXT) | instid1(VALU_DEP_3)
	v_fma_f32 v23, v18, v15, -v21
	v_add_f32_e32 v22, v9, v9
	v_subrev_co_ci_u32_e64 v16, s3, 0, v16, s3
	v_frexp_exp_i32_f64_e32 v4, v[4:5]
	s_delay_alu instid0(VALU_DEP_3) | instskip(NEXT) | instid1(VALU_DEP_3)
	v_dual_fmac_f32 v10, v17, v22 :: v_dual_fmac_f32 v23, v18, v8
	v_cvt_f32_i32_e32 v16, v16
	v_ldexp_f32 v8, v8, 1
	v_sub_f32_e32 v14, v19, v14
	s_delay_alu instid0(VALU_DEP_4) | instskip(NEXT) | instid1(VALU_DEP_1)
	v_dual_add_f32 v18, v12, v10 :: v_dual_fmac_f32 v23, v11, v15
	v_dual_fmaak_f32 v11, s5, v18, 0x3e91f4c4 :: v_dual_sub_f32 v12, v18, v12
	s_delay_alu instid0(VALU_DEP_1) | instskip(NEXT) | instid1(VALU_DEP_2)
	v_fmaak_f32 v11, v18, v11, 0x3ecccdef
	v_sub_f32_e32 v10, v10, v12
	s_delay_alu instid0(VALU_DEP_2) | instskip(NEXT) | instid1(VALU_DEP_1)
	v_dual_mul_f32 v24, v18, v11 :: v_dual_add_f32 v13, 0x31739010, v13
	v_add_f32_e32 v13, v13, v14
	s_delay_alu instid0(VALU_DEP_1) | instskip(NEXT) | instid1(VALU_DEP_1)
	v_add_f32_e32 v14, v20, v13
	v_dual_sub_f32 v20, v20, v14 :: v_dual_add_f32 v19, v21, v23
	v_subrev_co_ci_u32_e64 v4, s3, 0, v4, s4
	s_delay_alu instid0(VALU_DEP_2) | instskip(SKIP_2) | instid1(VALU_DEP_4)
	v_mul_f32_e32 v22, v19, v14
	v_fma_f32 v12, v18, v11, -v24
	v_sub_f32_e32 v21, v19, v21
	v_cvt_f32_i32_e32 v4, v4
	s_delay_alu instid0(VALU_DEP_3) | instskip(SKIP_4) | instid1(VALU_DEP_2)
	v_fmac_f32_e32 v12, v10, v11
	v_ldexp_f32 v11, v15, 1
	v_add_f32_e32 v13, v13, v20
	v_fma_f32 v20, v19, v14, -v22
	v_sub_f32_e32 v21, v23, v21
	v_dual_fmac_f32 v20, v19, v13 :: v_dual_mul_f32 v5, 0x3f317218, v16
	v_mul_f32_e32 v19, v17, v18
	s_delay_alu instid0(VALU_DEP_2) | instskip(NEXT) | instid1(VALU_DEP_3)
	v_fmac_f32_e32 v20, v21, v14
	v_fma_f32 v14, 0x3f317218, v16, -v5
	s_delay_alu instid0(VALU_DEP_3) | instskip(NEXT) | instid1(VALU_DEP_2)
	v_fma_f32 v25, v18, v17, -v19
	v_fmac_f32_e32 v14, 0xb102e308, v16
	v_add_f32_e32 v13, v24, v12
	s_delay_alu instid0(VALU_DEP_3) | instskip(SKIP_1) | instid1(VALU_DEP_2)
	v_fmac_f32_e32 v25, v18, v9
	v_ldexp_f32 v9, v9, 1
	v_dual_fmac_f32 v25, v10, v17 :: v_dual_add_f32 v10, v5, v14
	s_delay_alu instid0(VALU_DEP_4) | instskip(NEXT) | instid1(VALU_DEP_1)
	v_sub_f32_e32 v21, v13, v24
	v_dual_add_f32 v15, v22, v20 :: v_dual_sub_f32 v12, v12, v21
	s_delay_alu instid0(VALU_DEP_1) | instskip(SKIP_1) | instid1(VALU_DEP_3)
	v_sub_f32_e32 v22, v15, v22
	v_add_f32_e32 v24, v11, v15
	v_add_f32_e32 v12, 0x31739010, v12
	s_delay_alu instid0(VALU_DEP_3) | instskip(NEXT) | instid1(VALU_DEP_3)
	v_dual_sub_f32 v20, v20, v22 :: v_dual_add_f32 v23, 0x3f2aaaaa, v13
	v_sub_f32_e32 v11, v24, v11
	s_delay_alu instid0(VALU_DEP_2) | instskip(NEXT) | instid1(VALU_DEP_2)
	v_dual_add_f32 v8, v8, v20 :: v_dual_add_f32 v21, 0xbf2aaaaa, v23
	v_sub_f32_e32 v11, v15, v11
	s_delay_alu instid0(VALU_DEP_1) | instskip(NEXT) | instid1(VALU_DEP_1)
	v_dual_sub_f32 v13, v13, v21 :: v_dual_add_f32 v8, v8, v11
	v_add_f32_e32 v12, v12, v13
	s_delay_alu instid0(VALU_DEP_2) | instskip(NEXT) | instid1(VALU_DEP_1)
	v_add_f32_e32 v15, v24, v8
	v_dual_add_f32 v11, v23, v12 :: v_dual_add_f32 v20, v10, v15
	v_sub_f32_e32 v22, v15, v24
	s_delay_alu instid0(VALU_DEP_2) | instskip(NEXT) | instid1(VALU_DEP_2)
	v_sub_f32_e32 v16, v23, v11
	v_dual_add_f32 v13, v19, v25 :: v_dual_sub_f32 v8, v8, v22
	s_delay_alu instid0(VALU_DEP_2) | instskip(NEXT) | instid1(VALU_DEP_2)
	v_add_f32_e32 v12, v12, v16
	v_mul_f32_e32 v18, v13, v11
	v_dual_sub_f32 v16, v20, v10 :: v_dual_sub_f32 v19, v13, v19
	s_delay_alu instid0(VALU_DEP_2) | instskip(NEXT) | instid1(VALU_DEP_2)
	v_fma_f32 v21, v13, v11, -v18
	v_sub_f32_e32 v23, v20, v16
	s_delay_alu instid0(VALU_DEP_2) | instskip(SKIP_2) | instid1(VALU_DEP_4)
	v_fmac_f32_e32 v21, v13, v12
	v_dual_sub_f32 v12, v15, v16 :: v_dual_sub_f32 v5, v10, v5
	v_sub_f32_e32 v19, v25, v19
	v_sub_f32_e32 v10, v10, v23
	v_ldexp_f32 v13, v17, 1
	s_delay_alu instid0(VALU_DEP_2) | instskip(SKIP_1) | instid1(VALU_DEP_2)
	v_dual_fmac_f32 v21, v19, v11 :: v_dual_add_f32 v10, v12, v10
	v_dual_sub_f32 v5, v14, v5 :: v_dual_mul_f32 v14, 0x3f317218, v4
	v_dual_mul_f32 v19, 0.5, v6 :: v_dual_add_f32 v12, v18, v21
	s_delay_alu instid0(VALU_DEP_1) | instskip(NEXT) | instid1(VALU_DEP_1)
	v_dual_add_f32 v11, v5, v8 :: v_dual_sub_f32 v16, v12, v18
	v_add_f32_e32 v10, v11, v10
	s_delay_alu instid0(VALU_DEP_2) | instskip(NEXT) | instid1(VALU_DEP_2)
	v_sub_f32_e32 v16, v21, v16
	v_dual_add_f32 v18, v20, v10 :: v_dual_sub_f32 v15, v11, v5
	s_delay_alu instid0(VALU_DEP_1) | instskip(NEXT) | instid1(VALU_DEP_1)
	v_dual_add_f32 v17, v13, v12 :: v_dual_sub_f32 v8, v8, v15
	v_sub_f32_e32 v13, v17, v13
	v_sub_f32_e32 v11, v11, v15
	v_fma_f32 v15, 0x3f317218, v4, -v14
	s_delay_alu instid0(VALU_DEP_2) | instskip(SKIP_1) | instid1(VALU_DEP_3)
	v_dual_sub_f32 v12, v12, v13 :: v_dual_sub_f32 v5, v5, v11
	v_sub_f32_e32 v11, v18, v20
	v_fmac_f32_e32 v15, 0xb102e308, v4
	v_add_f32_e32 v9, v9, v16
	s_delay_alu instid0(VALU_DEP_3) | instskip(NEXT) | instid1(VALU_DEP_1)
	v_dual_add_f32 v5, v8, v5 :: v_dual_sub_f32 v8, v10, v11
	v_add_f32_e32 v5, v5, v8
	s_delay_alu instid0(VALU_DEP_1) | instskip(SKIP_2) | instid1(VALU_DEP_3)
	v_add_f32_e32 v10, v18, v5
	v_add_f32_e32 v8, v14, v15
	;; [unrolled: 1-line block ×3, first 2 shown]
	v_sub_f32_e32 v12, v10, v18
	v_mul_f32_e32 v13, v6, v10
	s_delay_alu instid0(VALU_DEP_4) | instskip(NEXT) | instid1(VALU_DEP_2)
	v_sub_f32_e32 v14, v8, v14
	v_fma_f32 v10, v6, v10, -v13
	s_delay_alu instid0(VALU_DEP_2) | instskip(NEXT) | instid1(VALU_DEP_1)
	v_dual_sub_f32 v14, v15, v14 :: v_dual_sub_f32 v5, v5, v12
	v_dual_add_f32 v9, v17, v4 :: v_dual_fmac_f32 v10, v6, v5
	s_delay_alu instid0(VALU_DEP_1) | instskip(NEXT) | instid1(VALU_DEP_1)
	v_sub_f32_e32 v12, v9, v17
	v_sub_f32_e32 v4, v4, v12
	s_delay_alu instid0(VALU_DEP_1) | instskip(NEXT) | instid1(VALU_DEP_1)
	v_dual_add_f32 v11, v8, v9 :: v_dual_add_f32 v12, v14, v4
	v_sub_f32_e32 v16, v11, v8
	v_cmp_class_f32_e64 s3, v13, 0x204
	s_delay_alu instid0(VALU_DEP_3) | instskip(NEXT) | instid1(VALU_DEP_3)
	v_sub_f32_e32 v15, v12, v14
	v_sub_f32_e32 v17, v11, v16
	;; [unrolled: 1-line block ×3, first 2 shown]
	s_delay_alu instid0(VALU_DEP_3) | instskip(NEXT) | instid1(VALU_DEP_3)
	v_dual_add_f32 v9, v13, v10 :: v_dual_sub_f32 v4, v4, v15
	v_sub_f32_e32 v8, v8, v17
	s_delay_alu instid0(VALU_DEP_1) | instskip(NEXT) | instid1(VALU_DEP_3)
	v_add_f32_e32 v5, v5, v8
	v_cndmask_b32_e64 v8, v9, v13, s3
	v_sub_f32_e32 v9, v9, v13
	s_delay_alu instid0(VALU_DEP_2) | instskip(NEXT) | instid1(VALU_DEP_2)
	v_cmp_eq_f32_e64 s3, 0x42b17218, v8
	v_sub_f32_e32 v9, v10, v9
	v_cndmask_b32_e64 v10, s11, 1.0, s2
	v_cmp_neq_f32_e64 s2, 0x7f800000, |v8|
	s_delay_alu instid0(VALU_DEP_4) | instskip(SKIP_1) | instid1(VALU_DEP_4)
	v_cndmask_b32_e64 v16, 0, 0x37000000, s3
	v_cmp_gt_f32_e64 s3, 0, v6
	v_cmp_eq_f32_e64 s5, 0, v10
	s_delay_alu instid0(VALU_DEP_3) | instskip(SKIP_3) | instid1(VALU_DEP_2)
	v_sub_f32_e32 v18, v8, v16
	v_add_f32_e32 v5, v12, v5
	v_sub_f32_e32 v12, v12, v15
	v_trunc_f32_e32 v8, v19
	v_sub_f32_e32 v12, v14, v12
	s_delay_alu instid0(VALU_DEP_4) | instskip(NEXT) | instid1(VALU_DEP_3)
	v_dual_mul_f32 v14, 0x3fb8aa3b, v18 :: v_dual_add_f32 v17, v11, v5
	v_cmp_neq_f32_e64 s4, v8, v19
	v_sub_f32_e64 v19, 1.0, s11
	s_delay_alu instid0(VALU_DEP_4) | instskip(NEXT) | instid1(VALU_DEP_4)
	v_add_f32_e32 v4, v4, v12
	v_rndne_f32_e32 v12, v14
	v_sub_f32_e32 v11, v17, v11
	s_delay_alu instid0(VALU_DEP_1) | instskip(SKIP_1) | instid1(VALU_DEP_1)
	v_sub_f32_e32 v5, v5, v11
	v_fma_f32 v11, 0x3fb8aa3b, v18, -v14
	v_dual_add_f32 v4, v4, v5 :: v_dual_fmac_f32 v11, 0x32a5705f, v18
	v_sub_f32_e32 v5, v14, v12
	v_cvt_i32_f32_e32 v12, v12
	s_delay_alu instid0(VALU_DEP_3) | instskip(NEXT) | instid1(VALU_DEP_1)
	v_add_f32_e32 v14, v17, v4
	v_sub_f32_e32 v15, v14, v17
	s_delay_alu instid0(VALU_DEP_1) | instskip(SKIP_1) | instid1(VALU_DEP_2)
	v_dual_mul_f32 v17, v3, v14 :: v_dual_sub_f32 v4, v4, v15
	v_add_f32_e32 v5, v5, v11
	v_fma_f32 v13, v3, v14, -v17
	v_trunc_f32_e32 v11, v6
	s_delay_alu instid0(VALU_DEP_3) | instskip(NEXT) | instid1(VALU_DEP_2)
	v_exp_f32_e32 v5, v5
	v_fmac_f32_e32 v13, v3, v4
	v_cndmask_b32_e64 v4, 0, v9, s2
	v_cmp_ngt_f32_e64 s2, 0xc2ce8ed0, v18
	s_delay_alu instid0(VALU_DEP_2) | instskip(SKIP_2) | instid1(VALU_DEP_1)
	v_dual_add_f32 v9, v17, v13 :: v_dual_add_f32 v4, v16, v4
	s_waitcnt_depctr 0xfff
	v_ldexp_f32 v5, v5, v12
	v_cndmask_b32_e64 v5, 0, v5, s2
	v_cmp_nlt_f32_e64 s2, 0x42b17218, v18
	v_sub_f32_e64 v18, 1.0, s10
	s_delay_alu instid0(VALU_DEP_2) | instskip(SKIP_1) | instid1(VALU_DEP_2)
	v_cndmask_b32_e64 v5, 0x7f800000, v5, s2
	v_cmp_class_f32_e64 s2, v17, 0x204
	v_fma_f32 v4, v5, v4, v5
	s_delay_alu instid0(VALU_DEP_2) | instskip(SKIP_1) | instid1(VALU_DEP_2)
	v_cndmask_b32_e64 v12, v9, v17, s2
	v_cmp_eq_f32_e64 s2, v11, v6
	v_cmp_eq_f32_e64 s6, 0x42b17218, v12
	s_delay_alu instid0(VALU_DEP_2) | instskip(NEXT) | instid1(SALU_CYCLE_1)
	s_and_b32 s4, s2, s4
	v_cndmask_b32_e64 v8, 1.0, v10, s4
	s_delay_alu instid0(VALU_DEP_2) | instskip(SKIP_1) | instid1(VALU_DEP_1)
	v_cndmask_b32_e64 v6, 0, 0x37000000, s6
	v_cmp_class_f32_e64 s6, v5, 0x204
	v_cndmask_b32_e64 v4, v4, v5, s6
	s_load_b32 s6, s[0:1], 0x60
	s_xor_b32 s0, s3, s5
	v_sub_f32_e32 v5, v12, v6
	v_cndmask_b32_e64 v11, 0x7f800000, 0, s0
	v_bfi_b32 v4, 0x7fffffff, v4, v8
	v_cndmask_b32_e64 v8, 0, v10, s4
	v_cmp_eq_f32_e64 s0, 0x7f800000, v7
	v_cmp_gt_f32_e64 s1, 0, v10
	v_mul_f32_e32 v14, 0x3fb8aa3b, v5
	v_cndmask_b32_e64 v7, 0x7fc00000, v4, s2
	v_bfi_b32 v8, 0x7fffffff, v11, v8
	s_or_b32 s0, s0, s5
	s_delay_alu instid0(VALU_DEP_3) | instskip(NEXT) | instid1(VALU_DEP_3)
	v_fma_f32 v11, 0x3fb8aa3b, v5, -v14
	v_cndmask_b32_e64 v4, v4, v7, s1
	v_rndne_f32_e32 v15, v14
	v_mbcnt_lo_u32_b32 v7, -1, 0
	v_cmp_neq_f32_e64 s1, 0x7f800000, |v12|
	v_fmac_f32_e32 v11, 0x32a5705f, v5
	v_cndmask_b32_e64 v4, v4, v8, s0
	v_sub_f32_e32 v14, v14, v15
	v_cmp_o_f32_e64 s0, v10, v10
	v_cvt_i32_f32_e32 v10, v15
	v_trunc_f32_e32 v15, v3
	s_delay_alu instid0(VALU_DEP_4) | instskip(SKIP_3) | instid1(VALU_DEP_4)
	v_dual_sub_f32 v4, 1.0, v4 :: v_dual_add_f32 v11, v14, v11
	v_lshlrev_b32_e32 v14, 1, v7
	v_lshlrev_b32_e32 v8, 2, v0
	v_and_or_b32 v0, 0x3e0, v0, v7
	v_cndmask_b32_e64 v4, 0x7fc00000, v4, s0
	v_exp_f32_e32 v11, v11
	s_delay_alu instid0(VALU_DEP_3) | instskip(NEXT) | instid1(VALU_DEP_2)
	v_and_b32_e32 v8, 0xf80, v8
	v_mul_f32_e32 v16, 0x4f800000, v4
	v_cmp_gt_f32_e64 s0, 0xf800000, v4
	s_delay_alu instid0(VALU_DEP_3) | instskip(NEXT) | instid1(VALU_DEP_2)
	v_or_b32_e32 v20, v7, v8
	v_cndmask_b32_e64 v4, v4, v16, s0
	s_waitcnt_depctr 0xfff
	v_ldexp_f32 v10, v11, v10
	v_or_b32_e32 v23, 32, v20
	v_or_b32_e32 v24, 64, v20
	;; [unrolled: 1-line block ×3, first 2 shown]
	v_sqrt_f32_e32 v11, v4
	v_sub_f32_e32 v9, v9, v17
	v_mul_f32_e32 v17, 0.5, v3
	s_delay_alu instid0(VALU_DEP_1) | instskip(NEXT) | instid1(VALU_DEP_1)
	v_trunc_f32_e32 v12, v17
	v_cmp_neq_f32_e64 s2, v12, v17
	s_waitcnt_depctr 0xfff
	v_dual_sub_f32 v9, v13, v9 :: v_dual_add_nc_u32 v12, -1, v11
	s_delay_alu instid0(VALU_DEP_1) | instskip(NEXT) | instid1(VALU_DEP_1)
	v_cndmask_b32_e64 v9, 0, v9, s1
	v_add_f32_e32 v6, v6, v9
	v_cmp_ngt_f32_e64 s1, 0xc2ce8ed0, v5
	v_cndmask_b32_e64 v9, s10, 1.0, vcc_lo
	s_delay_alu instid0(VALU_DEP_2) | instskip(SKIP_1) | instid1(VALU_DEP_3)
	v_cndmask_b32_e64 v10, 0, v10, s1
	v_cmp_nlt_f32_e64 s1, 0x42b17218, v5
	v_cmp_eq_f32_e64 s3, 0, v9
	s_delay_alu instid0(VALU_DEP_2) | instskip(SKIP_3) | instid1(VALU_DEP_4)
	v_cndmask_b32_e64 v5, 0x7f800000, v10, s1
	v_cmp_eq_f32_e64 s1, v15, v3
	v_fma_f32 v15, -v12, v11, v4
	v_lshlrev_b32_e32 v10, 2, v7
	v_fma_f32 v6, v5, v6, v5
	s_delay_alu instid0(VALU_DEP_4) | instskip(SKIP_3) | instid1(VALU_DEP_3)
	s_and_b32 vcc_lo, s1, s2
	v_cmp_class_f32_e64 s2, v5, 0x204
	v_cndmask_b32_e32 v13, 1.0, v9, vcc_lo
	v_cmp_ge_f32_e64 s4, 0, v15
	v_cndmask_b32_e64 v5, v6, v5, s2
	v_add_nc_u32_e32 v6, 1, v11
	v_cmp_gt_f32_e64 s2, 0, v3
	s_delay_alu instid0(VALU_DEP_3) | instskip(NEXT) | instid1(VALU_DEP_3)
	v_bfi_b32 v3, 0x7fffffff, v5, v13
	v_fma_f32 v5, -v6, v11, v4
	v_cndmask_b32_e64 v11, v11, v12, s4
	v_cndmask_b32_e32 v13, 0, v9, vcc_lo
	s_xor_b32 s2, s2, s3
	v_cndmask_b32_e64 v15, 0x7fc00000, v3, s1
	v_cmp_lt_f32_e32 vcc_lo, 0, v5
	v_cndmask_b32_e64 v12, 0x7f800000, 0, s2
	v_cmp_gt_f32_e64 s1, 0, v9
	v_cndmask_b32_e32 v5, v11, v6, vcc_lo
	v_cmp_eq_f32_e32 vcc_lo, 0x7f800000, v2
	s_delay_alu instid0(VALU_DEP_4) | instskip(NEXT) | instid1(VALU_DEP_4)
	v_bfi_b32 v2, 0x7fffffff, v12, v13
	v_cndmask_b32_e64 v3, v3, v15, s1
	v_add_co_u32 v11, s1, s16, v14
	v_mul_f32_e32 v6, 0x37800000, v5
	s_or_b32 vcc_lo, vcc_lo, s3
	v_add_co_ci_u32_e64 v12, null, s17, 0, s1
	v_cndmask_b32_e32 v2, v3, v2, vcc_lo
	s_delay_alu instid0(VALU_DEP_3) | instskip(SKIP_2) | instid1(VALU_DEP_4)
	v_cndmask_b32_e64 v5, v5, v6, s0
	v_cmp_class_f32_e64 vcc_lo, v4, 0x260
	v_lshrrev_b32_e32 v6, 5, v8
	v_sub_f32_e32 v2, 1.0, v2
	s_delay_alu instid0(VALU_DEP_4) | instskip(SKIP_3) | instid1(VALU_DEP_4)
	v_cndmask_b32_e32 v4, v5, v4, vcc_lo
	v_cmp_o_f32_e32 vcc_lo, v9, v9
	v_lshlrev_b32_e32 v3, 1, v8
	v_add_co_u32 v9, s0, s20, v10
	v_mul_f32_e64 v7, v4, -s15
	v_cndmask_b32_e32 v2, 0x7fc00000, v2, vcc_lo
	s_delay_alu instid0(VALU_DEP_4) | instskip(SKIP_1) | instid1(VALU_DEP_3)
	v_add_co_u32 v21, vcc_lo, v11, v3
	v_add_co_ci_u32_e32 v22, vcc_lo, 0, v12, vcc_lo
	v_div_scale_f32 v15, null, v2, v2, v7
	v_div_scale_f32 v36, vcc_lo, v7, v2, v7
	v_lshlrev_b32_e32 v8, 2, v8
	s_delay_alu instid0(VALU_DEP_3) | instskip(SKIP_2) | instid1(VALU_DEP_1)
	v_rcp_f32_e32 v17, v15
	v_add_co_ci_u32_e64 v13, null, s21, 0, s0
	v_add_co_u32 v10, s0, s22, v10
	v_add_co_ci_u32_e64 v16, null, s23, 0, s0
	v_add_co_u32 v14, s0, s18, v14
	s_delay_alu instid0(VALU_DEP_1) | instskip(SKIP_4) | instid1(VALU_DEP_1)
	v_add_co_ci_u32_e64 v32, null, s19, 0, s0
	s_waitcnt_depctr 0xfff
	v_fma_f32 v11, -v15, v17, 1.0
	v_add_nc_u32_e32 v6, v6, v20
	v_add_co_u32 v26, s0, v9, v8
	v_add_co_ci_u32_e64 v27, s0, 0, v13, s0
	s_delay_alu instid0(VALU_DEP_4) | instskip(SKIP_3) | instid1(VALU_DEP_1)
	v_fmac_f32_e32 v17, v11, v17
	v_lshlrev_b32_e32 v5, 2, v0
	v_bfe_u32 v0, v0, 3, 27
	v_add_co_u32 v29, s0, v10, v8
	v_add_co_ci_u32_e64 v30, s0, 0, v16, s0
	s_delay_alu instid0(VALU_DEP_3) | instskip(SKIP_3) | instid1(VALU_DEP_4)
	v_and_b32_e32 v12, 0x7e, v0
	v_add_lshl_u32 v28, v0, v5, 2
	v_mul_f32_e32 v0, v36, v17
	v_add_co_u32 v31, s0, v14, v3
	v_add_lshl_u32 v34, v12, v5, 1
	v_lshrrev_b32_e32 v3, 5, v23
	s_delay_alu instid0(VALU_DEP_4) | instskip(SKIP_3) | instid1(VALU_DEP_4)
	v_fma_f32 v8, -v15, v0, v36
	v_lshlrev_b32_e32 v33, 1, v6
	v_lshrrev_b32_e32 v9, 5, v24
	v_dual_mul_f32 v42, s12, v4 :: v_dual_lshlrev_b32 v35, 2, v6
	v_fmac_f32_e32 v0, v8, v17
	v_lshrrev_b32_e32 v8, 5, v25
	v_and_b32_e32 v6, 0x7c, v3
	v_add_nc_u32_e32 v9, v9, v24
	v_add_co_ci_u32_e64 v32, s0, 0, v32, s0
	v_fma_f32 v5, -v15, v0, v36
	v_add_lshl_u32 v36, v3, v23, 2
	v_add_lshl_u32 v37, v8, v25, 2
	v_add_lshl_u32 v38, v6, v23, 1
	v_lshlrev_b32_e32 v39, 1, v9
	v_div_fmas_f32 v0, v5, v17, v0
	v_and_b32_e32 v5, 0x7e, v8
	v_lshlrev_b32_e32 v41, 2, v9
	s_waitcnt lgkmcnt(0)
	s_lshl_b32 s12, s6, 12
	s_xor_b32 s15, s7, -1
	v_div_fixup_f32 v0, v0, v2, v7
	v_add_lshl_u32 v40, v5, v25, 1
                                        ; implicit-def: $vgpr14
                                        ; implicit-def: $vgpr17
                                        ; implicit-def: $vgpr16
                                        ; implicit-def: $vgpr15
                                        ; implicit-def: $vgpr4_vgpr5_vgpr6_vgpr7
	s_delay_alu instid0(VALU_DEP_2)
	v_mul_f32_e32 v43, v0, v1
                                        ; implicit-def: $vgpr0_vgpr1_vgpr2_vgpr3
	s_branch .LBB70_6
.LBB70_5:                               ;   in Loop: Header=BB70_6 Depth=1
	s_or_b32 exec_lo, exec_lo, s0
	s_add_i32 s8, s8, s12
	s_sub_i32 s13, s13, s12
	s_cmp_ge_u32 s8, s27
	s_cbranch_scc1 .LBB70_130
.LBB70_6:                               ; =>This Inner Loop Header: Depth=1
	s_lshl_b64 s[4:5], s[8:9], 1
	s_min_u32 s3, s13, 0x1000
	v_add_co_u32 v8, vcc_lo, v21, s4
	v_add_co_ci_u32_e32 v9, vcc_lo, s5, v22, vcc_lo
	v_cmp_gt_u32_e64 s0, s3, v20
	s_waitcnt lgkmcnt(0)
	s_waitcnt_vscnt null, 0x0
	s_barrier
	buffer_gl0_inv
	s_and_saveexec_b32 s1, s0
	s_cbranch_execnz .LBB70_51
; %bb.7:                                ;   in Loop: Header=BB70_6 Depth=1
	s_or_b32 exec_lo, exec_lo, s1
	v_cmp_gt_u32_e64 s1, s3, v23
	s_delay_alu instid0(VALU_DEP_1)
	s_and_saveexec_b32 s2, s1
	s_cbranch_execnz .LBB70_52
.LBB70_8:                               ;   in Loop: Header=BB70_6 Depth=1
	s_or_b32 exec_lo, exec_lo, s2
	v_cmp_gt_u32_e64 s2, s3, v24
	s_delay_alu instid0(VALU_DEP_1)
	s_and_saveexec_b32 s6, s2
	s_cbranch_execnz .LBB70_53
.LBB70_9:                               ;   in Loop: Header=BB70_6 Depth=1
	s_or_b32 exec_lo, exec_lo, s6
	v_cmp_gt_u32_e64 s3, s3, v25
	s_delay_alu instid0(VALU_DEP_1)
	s_and_saveexec_b32 s6, s3
	s_cbranch_execz .LBB70_11
.LBB70_10:                              ;   in Loop: Header=BB70_6 Depth=1
	global_load_u16 v48, v[8:9], off offset:192
.LBB70_11:                              ;   in Loop: Header=BB70_6 Depth=1
	s_or_b32 exec_lo, exec_lo, s6
	s_waitcnt vmcnt(0)
	ds_store_b16 v33, v16
	ds_store_b16 v38, v17
	;; [unrolled: 1-line block ×4, first 2 shown]
	; wave barrier
	ds_load_b64 v[16:17], v34
	s_lshl_b64 s[6:7], s[8:9], 2
	s_waitcnt lgkmcnt(0)
	v_add_co_u32 v8, vcc_lo, v26, s6
	v_add_co_ci_u32_e32 v9, vcc_lo, s7, v27, vcc_lo
	s_barrier
	buffer_gl0_inv
	s_and_saveexec_b32 s16, s0
	s_cbranch_execnz .LBB70_54
; %bb.12:                               ;   in Loop: Header=BB70_6 Depth=1
	s_or_b32 exec_lo, exec_lo, s16
	s_and_saveexec_b32 s16, s1
	s_cbranch_execnz .LBB70_55
.LBB70_13:                              ;   in Loop: Header=BB70_6 Depth=1
	s_or_b32 exec_lo, exec_lo, s16
	s_and_saveexec_b32 s16, s2
	s_cbranch_execnz .LBB70_56
.LBB70_14:                              ;   in Loop: Header=BB70_6 Depth=1
	s_or_b32 exec_lo, exec_lo, s16
	s_and_saveexec_b32 s16, s3
	s_cbranch_execz .LBB70_16
.LBB70_15:                              ;   in Loop: Header=BB70_6 Depth=1
	global_load_b32 v7, v[8:9], off offset:384
.LBB70_16:                              ;   in Loop: Header=BB70_6 Depth=1
	s_or_b32 exec_lo, exec_lo, s16
	s_waitcnt vmcnt(0)
	ds_store_b32 v35, v4
	ds_store_b32 v36, v5
	ds_store_b32 v41, v6
	ds_store_b32 v37, v7
	; wave barrier
	ds_load_2addr_b32 v[6:7], v28 offset1:1
	ds_load_2addr_b32 v[4:5], v28 offset0:2 offset1:3
	v_add_co_u32 v10, vcc_lo, v29, s6
	v_add_co_ci_u32_e32 v11, vcc_lo, s7, v30, vcc_lo
	s_waitcnt lgkmcnt(0)
	s_barrier
	buffer_gl0_inv
	s_and_saveexec_b32 s6, s0
	s_cbranch_execnz .LBB70_57
; %bb.17:                               ;   in Loop: Header=BB70_6 Depth=1
	s_or_b32 exec_lo, exec_lo, s6
	s_and_saveexec_b32 s6, s1
	s_cbranch_execnz .LBB70_58
.LBB70_18:                              ;   in Loop: Header=BB70_6 Depth=1
	s_or_b32 exec_lo, exec_lo, s6
	s_and_saveexec_b32 s6, s2
	s_cbranch_execnz .LBB70_59
.LBB70_19:                              ;   in Loop: Header=BB70_6 Depth=1
	s_or_b32 exec_lo, exec_lo, s6
	s_and_saveexec_b32 s6, s3
	s_cbranch_execz .LBB70_21
.LBB70_20:                              ;   in Loop: Header=BB70_6 Depth=1
	global_load_b32 v3, v[10:11], off offset:384
.LBB70_21:                              ;   in Loop: Header=BB70_6 Depth=1
	s_or_b32 exec_lo, exec_lo, s6
	s_waitcnt vmcnt(0)
	ds_store_b32 v35, v0
	ds_store_b32 v36, v1
	;; [unrolled: 1-line block ×4, first 2 shown]
	; wave barrier
	ds_load_2addr_b32 v[2:3], v28 offset1:1
	ds_load_2addr_b32 v[0:1], v28 offset0:2 offset1:3
	v_add_co_u32 v12, vcc_lo, v31, s4
	v_add_co_ci_u32_e32 v13, vcc_lo, s5, v32, vcc_lo
	s_waitcnt lgkmcnt(0)
	s_barrier
	buffer_gl0_inv
	s_and_saveexec_b32 s4, s0
	s_cbranch_execnz .LBB70_60
; %bb.22:                               ;   in Loop: Header=BB70_6 Depth=1
	s_or_b32 exec_lo, exec_lo, s4
	s_and_saveexec_b32 s4, s1
	s_cbranch_execnz .LBB70_61
.LBB70_23:                              ;   in Loop: Header=BB70_6 Depth=1
	s_or_b32 exec_lo, exec_lo, s4
	s_and_saveexec_b32 s4, s2
	s_cbranch_execnz .LBB70_62
.LBB70_24:                              ;   in Loop: Header=BB70_6 Depth=1
	s_or_b32 exec_lo, exec_lo, s4
	s_and_saveexec_b32 s4, s3
	s_cbranch_execz .LBB70_26
.LBB70_25:                              ;   in Loop: Header=BB70_6 Depth=1
	global_load_u16 v15, v[12:13], off offset:192
.LBB70_26:                              ;   in Loop: Header=BB70_6 Depth=1
	s_or_b32 exec_lo, exec_lo, s4
	s_waitcnt vmcnt(0)
	ds_store_b16 v33, v47
	ds_store_b16 v38, v46
	;; [unrolled: 1-line block ×4, first 2 shown]
	; wave barrier
	ds_load_b64 v[14:15], v34
	v_lshlrev_b32_e32 v45, 16, v16
	s_mov_b32 s4, exec_lo
                                        ; implicit-def: $vgpr49
	s_delay_alu instid0(VALU_DEP_1) | instskip(NEXT) | instid1(VALU_DEP_1)
	v_mul_f32_e32 v45, s24, v45
	v_and_b32_e32 v46, 0x7f800000, v45
	s_delay_alu instid0(VALU_DEP_1)
	v_cmpx_ne_u32_e32 0x7f800000, v46
	s_xor_b32 s4, exec_lo, s4
; %bb.27:                               ;   in Loop: Header=BB70_6 Depth=1
	v_bfe_u32 v46, v45, 16, 1
	s_delay_alu instid0(VALU_DEP_1)
	v_add3_u32 v49, v45, v46, 0x7fff
                                        ; implicit-def: $vgpr45
; %bb.28:                               ;   in Loop: Header=BB70_6 Depth=1
	s_and_not1_saveexec_b32 s4, s4
; %bb.29:                               ;   in Loop: Header=BB70_6 Depth=1
	v_and_b32_e32 v46, 0xffff, v45
	v_or_b32_e32 v47, 0x10000, v45
	s_delay_alu instid0(VALU_DEP_2) | instskip(NEXT) | instid1(VALU_DEP_2)
	v_cmp_eq_u32_e32 vcc_lo, 0, v46
	v_cndmask_b32_e32 v49, v47, v45, vcc_lo
; %bb.30:                               ;   in Loop: Header=BB70_6 Depth=1
	s_or_b32 exec_lo, exec_lo, s4
	v_and_b32_e32 v16, 0xffff0000, v16
	s_mov_b32 s4, exec_lo
                                        ; implicit-def: $vgpr48
	s_delay_alu instid0(VALU_DEP_1) | instskip(NEXT) | instid1(VALU_DEP_1)
	v_mul_f32_e32 v16, s24, v16
	v_and_b32_e32 v45, 0x7f800000, v16
	s_delay_alu instid0(VALU_DEP_1)
	v_cmpx_ne_u32_e32 0x7f800000, v45
	s_xor_b32 s4, exec_lo, s4
; %bb.31:                               ;   in Loop: Header=BB70_6 Depth=1
	v_bfe_u32 v45, v16, 16, 1
	s_delay_alu instid0(VALU_DEP_1)
	v_add3_u32 v48, v16, v45, 0x7fff
                                        ; implicit-def: $vgpr16
; %bb.32:                               ;   in Loop: Header=BB70_6 Depth=1
	s_and_not1_saveexec_b32 s4, s4
; %bb.33:                               ;   in Loop: Header=BB70_6 Depth=1
	v_and_b32_e32 v45, 0xffff, v16
	v_or_b32_e32 v46, 0x10000, v16
	s_delay_alu instid0(VALU_DEP_2) | instskip(NEXT) | instid1(VALU_DEP_2)
	v_cmp_eq_u32_e32 vcc_lo, 0, v45
	v_cndmask_b32_e32 v48, v46, v16, vcc_lo
; %bb.34:                               ;   in Loop: Header=BB70_6 Depth=1
	s_or_b32 exec_lo, exec_lo, s4
	v_lshlrev_b32_e32 v16, 16, v17
	s_mov_b32 s4, exec_lo
                                        ; implicit-def: $vgpr47
	s_delay_alu instid0(VALU_DEP_1) | instskip(NEXT) | instid1(VALU_DEP_1)
	v_mul_f32_e32 v16, s24, v16
	v_and_b32_e32 v45, 0x7f800000, v16
	s_delay_alu instid0(VALU_DEP_1)
	v_cmpx_ne_u32_e32 0x7f800000, v45
	s_xor_b32 s4, exec_lo, s4
; %bb.35:                               ;   in Loop: Header=BB70_6 Depth=1
	v_bfe_u32 v45, v16, 16, 1
	s_delay_alu instid0(VALU_DEP_1)
	v_add3_u32 v47, v16, v45, 0x7fff
                                        ; implicit-def: $vgpr16
; %bb.36:                               ;   in Loop: Header=BB70_6 Depth=1
	s_and_not1_saveexec_b32 s4, s4
; %bb.37:                               ;   in Loop: Header=BB70_6 Depth=1
	v_and_b32_e32 v45, 0xffff, v16
	v_or_b32_e32 v46, 0x10000, v16
	s_delay_alu instid0(VALU_DEP_2) | instskip(NEXT) | instid1(VALU_DEP_2)
	v_cmp_eq_u32_e32 vcc_lo, 0, v45
	v_cndmask_b32_e32 v47, v46, v16, vcc_lo
; %bb.38:                               ;   in Loop: Header=BB70_6 Depth=1
	s_or_b32 exec_lo, exec_lo, s4
	v_and_b32_e32 v16, 0xffff0000, v17
	s_mov_b32 s4, exec_lo
                                        ; implicit-def: $vgpr45
	s_delay_alu instid0(VALU_DEP_1) | instskip(NEXT) | instid1(VALU_DEP_1)
	v_mul_f32_e32 v16, s24, v16
	v_and_b32_e32 v17, 0x7f800000, v16
	s_delay_alu instid0(VALU_DEP_1)
	v_cmpx_ne_u32_e32 0x7f800000, v17
	s_xor_b32 s4, exec_lo, s4
; %bb.39:                               ;   in Loop: Header=BB70_6 Depth=1
	v_bfe_u32 v17, v16, 16, 1
	s_delay_alu instid0(VALU_DEP_1)
	v_add3_u32 v45, v16, v17, 0x7fff
                                        ; implicit-def: $vgpr16
; %bb.40:                               ;   in Loop: Header=BB70_6 Depth=1
	s_and_not1_saveexec_b32 s4, s4
; %bb.41:                               ;   in Loop: Header=BB70_6 Depth=1
	v_and_b32_e32 v17, 0xffff, v16
	v_or_b32_e32 v45, 0x10000, v16
	s_delay_alu instid0(VALU_DEP_2) | instskip(NEXT) | instid1(VALU_DEP_2)
	v_cmp_eq_u32_e32 vcc_lo, 0, v17
	v_cndmask_b32_e32 v45, v45, v16, vcc_lo
; %bb.42:                               ;   in Loop: Header=BB70_6 Depth=1
	s_or_b32 exec_lo, exec_lo, s4
	v_lshrrev_b32_e32 v16, 16, v49
	s_waitcnt lgkmcnt(0)
	s_delay_alu instid0(VALU_DEP_1) | instskip(NEXT) | instid1(VALU_DEP_1)
	v_dual_mov_b32 v46, v14 :: v_dual_and_b32 v17, 0x7fff, v16
	v_cmp_ne_u16_e32 vcc_lo, 0, v17
	s_or_b32 s4, s15, vcc_lo
	s_delay_alu instid0(SALU_CYCLE_1)
	s_and_saveexec_b32 s5, s4
	s_cbranch_execz .LBB70_67
; %bb.43:                               ;   in Loop: Header=BB70_6 Depth=1
	v_and_b32_e32 v46, 0xffff0000, v49
	s_delay_alu instid0(VALU_DEP_1) | instskip(NEXT) | instid1(VALU_DEP_1)
	v_mul_f32_e32 v17, v46, v46
	v_mul_f32_e32 v17, v19, v17
	s_delay_alu instid0(VALU_DEP_1) | instskip(NEXT) | instid1(VALU_DEP_1)
	v_fmac_f32_e32 v17, s11, v2
	v_mul_f32_e32 v2, 0x4f800000, v17
	v_cmp_gt_f32_e32 vcc_lo, 0xf800000, v17
	s_delay_alu instid0(VALU_DEP_2) | instskip(NEXT) | instid1(VALU_DEP_1)
	v_cndmask_b32_e32 v49, v17, v2, vcc_lo
	v_sqrt_f32_e32 v2, v49
	s_waitcnt_depctr 0xfff
	v_add_nc_u32_e32 v50, -1, v2
	v_add_nc_u32_e32 v51, 1, v2
	s_delay_alu instid0(VALU_DEP_2) | instskip(NEXT) | instid1(VALU_DEP_2)
	v_fma_f32 v52, -v50, v2, v49
	v_fma_f32 v53, -v51, v2, v49
	s_delay_alu instid0(VALU_DEP_2) | instskip(NEXT) | instid1(VALU_DEP_1)
	v_cmp_ge_f32_e64 s4, 0, v52
	v_cndmask_b32_e64 v2, v2, v50, s4
	s_delay_alu instid0(VALU_DEP_3) | instskip(NEXT) | instid1(VALU_DEP_1)
	v_cmp_lt_f32_e64 s4, 0, v53
	v_cndmask_b32_e64 v2, v2, v51, s4
	s_delay_alu instid0(VALU_DEP_1) | instskip(NEXT) | instid1(VALU_DEP_1)
	v_mul_f32_e32 v50, 0x37800000, v2
	v_cndmask_b32_e32 v50, v2, v50, vcc_lo
	v_cmp_class_f32_e64 vcc_lo, v49, 0x260
	v_mul_f32_e32 v2, v18, v46
	s_delay_alu instid0(VALU_DEP_3) | instskip(NEXT) | instid1(VALU_DEP_2)
	v_cndmask_b32_e32 v46, v50, v49, vcc_lo
	v_fmac_f32_e32 v2, s10, v6
	s_delay_alu instid0(VALU_DEP_2) | instskip(NEXT) | instid1(VALU_DEP_1)
	v_add_f32_e32 v6, v42, v46
	v_div_scale_f32 v46, null, v6, v6, v2
	s_delay_alu instid0(VALU_DEP_1) | instskip(SKIP_2) | instid1(VALU_DEP_1)
	v_rcp_f32_e32 v49, v46
	s_waitcnt_depctr 0xfff
	v_fma_f32 v50, -v46, v49, 1.0
	v_fmac_f32_e32 v49, v50, v49
	v_div_scale_f32 v50, vcc_lo, v2, v6, v2
	s_delay_alu instid0(VALU_DEP_1) | instskip(NEXT) | instid1(VALU_DEP_1)
	v_mul_f32_e32 v51, v50, v49
	v_fma_f32 v52, -v46, v51, v50
	s_delay_alu instid0(VALU_DEP_1) | instskip(NEXT) | instid1(VALU_DEP_1)
	v_fmac_f32_e32 v51, v52, v49
	v_fma_f32 v46, -v46, v51, v50
	s_delay_alu instid0(VALU_DEP_1) | instskip(SKIP_1) | instid1(VALU_DEP_2)
	v_div_fmas_f32 v49, v46, v49, v51
	v_lshlrev_b32_e32 v46, 16, v14
	v_div_fixup_f32 v6, v49, v6, v2
	s_delay_alu instid0(VALU_DEP_1) | instskip(NEXT) | instid1(VALU_DEP_1)
	v_fmac_f32_e32 v46, v43, v6
	v_and_b32_e32 v6, 0x7f800000, v46
	s_delay_alu instid0(VALU_DEP_1) | instskip(SKIP_1) | instid1(SALU_CYCLE_1)
	v_cmp_ne_u32_e32 vcc_lo, 0x7f800000, v6
                                        ; implicit-def: $vgpr6
	s_and_saveexec_b32 s4, vcc_lo
	s_xor_b32 s4, exec_lo, s4
	s_cbranch_execnz .LBB70_63
; %bb.44:                               ;   in Loop: Header=BB70_6 Depth=1
	s_and_not1_saveexec_b32 s4, s4
	s_cbranch_execnz .LBB70_64
.LBB70_45:                              ;   in Loop: Header=BB70_6 Depth=1
	s_or_b32 exec_lo, exec_lo, s4
	s_delay_alu instid0(SALU_CYCLE_1)
	s_and_not1_b32 vcc_lo, exec_lo, s14
	s_cbranch_vccnz .LBB70_65
.LBB70_46:                              ;   in Loop: Header=BB70_6 Depth=1
	s_delay_alu instid0(VALU_DEP_1) | instskip(NEXT) | instid1(VALU_DEP_1)
	v_and_b32_e32 v6, 0xffff0000, v6
	v_mul_f32_e32 v6, v44, v6
	s_delay_alu instid0(VALU_DEP_1) | instskip(NEXT) | instid1(VALU_DEP_1)
	v_and_b32_e32 v46, 0x7f800000, v6
	v_cmp_ne_u32_e32 vcc_lo, 0x7f800000, v46
                                        ; implicit-def: $vgpr46
	s_and_saveexec_b32 s4, vcc_lo
	s_delay_alu instid0(SALU_CYCLE_1)
	s_xor_b32 s4, exec_lo, s4
; %bb.47:                               ;   in Loop: Header=BB70_6 Depth=1
	v_bfe_u32 v46, v6, 16, 1
	s_delay_alu instid0(VALU_DEP_1)
	v_add3_u32 v46, v6, v46, 0x7fff
                                        ; implicit-def: $vgpr6
; %bb.48:                               ;   in Loop: Header=BB70_6 Depth=1
	s_and_not1_saveexec_b32 s4, s4
; %bb.49:                               ;   in Loop: Header=BB70_6 Depth=1
	v_and_b32_e32 v46, 0xffff, v6
	v_or_b32_e32 v49, 0x10000, v6
	s_delay_alu instid0(VALU_DEP_2) | instskip(NEXT) | instid1(VALU_DEP_2)
	v_cmp_eq_u32_e32 vcc_lo, 0, v46
	v_cndmask_b32_e32 v46, v49, v6, vcc_lo
; %bb.50:                               ;   in Loop: Header=BB70_6 Depth=1
	s_or_b32 exec_lo, exec_lo, s4
	s_delay_alu instid0(VALU_DEP_1)
	v_lshrrev_b32_e32 v46, 16, v46
	s_branch .LBB70_66
.LBB70_51:                              ;   in Loop: Header=BB70_6 Depth=1
	global_load_u16 v16, v[8:9], off
	s_or_b32 exec_lo, exec_lo, s1
	v_cmp_gt_u32_e64 s1, s3, v23
	s_delay_alu instid0(VALU_DEP_1)
	s_and_saveexec_b32 s2, s1
	s_cbranch_execz .LBB70_8
.LBB70_52:                              ;   in Loop: Header=BB70_6 Depth=1
	global_load_u16 v17, v[8:9], off offset:64
	s_or_b32 exec_lo, exec_lo, s2
	v_cmp_gt_u32_e64 s2, s3, v24
	s_delay_alu instid0(VALU_DEP_1)
	s_and_saveexec_b32 s6, s2
	s_cbranch_execz .LBB70_9
.LBB70_53:                              ;   in Loop: Header=BB70_6 Depth=1
	global_load_u16 v14, v[8:9], off offset:128
	s_or_b32 exec_lo, exec_lo, s6
	v_cmp_gt_u32_e64 s3, s3, v25
	s_delay_alu instid0(VALU_DEP_1)
	s_and_saveexec_b32 s6, s3
	s_cbranch_execnz .LBB70_10
	s_branch .LBB70_11
.LBB70_54:                              ;   in Loop: Header=BB70_6 Depth=1
	global_load_b32 v4, v[8:9], off
	s_or_b32 exec_lo, exec_lo, s16
	s_and_saveexec_b32 s16, s1
	s_cbranch_execz .LBB70_13
.LBB70_55:                              ;   in Loop: Header=BB70_6 Depth=1
	global_load_b32 v5, v[8:9], off offset:128
	s_or_b32 exec_lo, exec_lo, s16
	s_and_saveexec_b32 s16, s2
	s_cbranch_execz .LBB70_14
.LBB70_56:                              ;   in Loop: Header=BB70_6 Depth=1
	global_load_b32 v6, v[8:9], off offset:256
	s_or_b32 exec_lo, exec_lo, s16
	s_and_saveexec_b32 s16, s3
	s_cbranch_execnz .LBB70_15
	s_branch .LBB70_16
.LBB70_57:                              ;   in Loop: Header=BB70_6 Depth=1
	global_load_b32 v0, v[10:11], off
	s_or_b32 exec_lo, exec_lo, s6
	s_and_saveexec_b32 s6, s1
	s_cbranch_execz .LBB70_18
.LBB70_58:                              ;   in Loop: Header=BB70_6 Depth=1
	global_load_b32 v1, v[10:11], off offset:128
	s_or_b32 exec_lo, exec_lo, s6
	s_and_saveexec_b32 s6, s2
	s_cbranch_execz .LBB70_19
.LBB70_59:                              ;   in Loop: Header=BB70_6 Depth=1
	global_load_b32 v2, v[10:11], off offset:256
	s_or_b32 exec_lo, exec_lo, s6
	s_and_saveexec_b32 s6, s3
	s_cbranch_execnz .LBB70_20
	s_branch .LBB70_21
.LBB70_60:                              ;   in Loop: Header=BB70_6 Depth=1
	global_load_u16 v47, v[12:13], off
	s_or_b32 exec_lo, exec_lo, s4
	s_and_saveexec_b32 s4, s1
	s_cbranch_execz .LBB70_23
.LBB70_61:                              ;   in Loop: Header=BB70_6 Depth=1
	global_load_u16 v46, v[12:13], off offset:64
	s_or_b32 exec_lo, exec_lo, s4
	s_and_saveexec_b32 s4, s2
	s_cbranch_execz .LBB70_24
.LBB70_62:                              ;   in Loop: Header=BB70_6 Depth=1
	global_load_u16 v45, v[12:13], off offset:128
	s_or_b32 exec_lo, exec_lo, s4
	s_and_saveexec_b32 s4, s3
	s_cbranch_execnz .LBB70_25
	s_branch .LBB70_26
.LBB70_63:                              ;   in Loop: Header=BB70_6 Depth=1
	v_bfe_u32 v6, v46, 16, 1
	s_delay_alu instid0(VALU_DEP_1)
	v_add3_u32 v6, v46, v6, 0x7fff
                                        ; implicit-def: $vgpr46
	s_and_not1_saveexec_b32 s4, s4
	s_cbranch_execz .LBB70_45
.LBB70_64:                              ;   in Loop: Header=BB70_6 Depth=1
	v_and_b32_e32 v6, 0xffff, v46
	v_or_b32_e32 v49, 0x10000, v46
	s_delay_alu instid0(VALU_DEP_2) | instskip(NEXT) | instid1(VALU_DEP_2)
	v_cmp_eq_u32_e32 vcc_lo, 0, v6
	v_cndmask_b32_e32 v6, v49, v46, vcc_lo
	s_or_b32 exec_lo, exec_lo, s4
	s_delay_alu instid0(SALU_CYCLE_1)
	s_and_not1_b32 vcc_lo, exec_lo, s14
	s_cbranch_vccz .LBB70_46
.LBB70_65:                              ;   in Loop: Header=BB70_6 Depth=1
	s_delay_alu instid0(VALU_DEP_1)
	v_lshrrev_b32_e32 v46, 16, v6
.LBB70_66:                              ;   in Loop: Header=BB70_6 Depth=1
	v_mov_b32_e32 v6, v2
	v_mov_b32_e32 v2, v17
.LBB70_67:                              ;   in Loop: Header=BB70_6 Depth=1
	s_or_b32 exec_lo, exec_lo, s5
	v_lshrrev_b32_e32 v17, 16, v48
	s_delay_alu instid0(VALU_DEP_1) | instskip(NEXT) | instid1(VALU_DEP_1)
	v_and_b32_e32 v49, 0x7fff, v17
	v_cmp_ne_u16_e32 vcc_lo, 0, v49
	v_lshrrev_b32_e32 v49, 16, v14
	s_or_b32 s4, s15, vcc_lo
	s_delay_alu instid0(SALU_CYCLE_1)
	s_and_saveexec_b32 s5, s4
	s_cbranch_execz .LBB70_80
; %bb.68:                               ;   in Loop: Header=BB70_6 Depth=1
	v_and_b32_e32 v48, 0xffff0000, v48
	s_delay_alu instid0(VALU_DEP_1) | instskip(NEXT) | instid1(VALU_DEP_1)
	v_mul_f32_e32 v14, v48, v48
	v_mul_f32_e32 v14, v19, v14
	s_delay_alu instid0(VALU_DEP_1) | instskip(NEXT) | instid1(VALU_DEP_1)
	v_fmac_f32_e32 v14, s11, v3
	v_mul_f32_e32 v3, 0x4f800000, v14
	v_cmp_gt_f32_e32 vcc_lo, 0xf800000, v14
	s_delay_alu instid0(VALU_DEP_2) | instskip(NEXT) | instid1(VALU_DEP_1)
	v_cndmask_b32_e32 v50, v14, v3, vcc_lo
	v_sqrt_f32_e32 v3, v50
	s_waitcnt_depctr 0xfff
	v_add_nc_u32_e32 v51, -1, v3
	v_add_nc_u32_e32 v52, 1, v3
	s_delay_alu instid0(VALU_DEP_2) | instskip(NEXT) | instid1(VALU_DEP_2)
	v_fma_f32 v53, -v51, v3, v50
	v_fma_f32 v54, -v52, v3, v50
	s_delay_alu instid0(VALU_DEP_2) | instskip(NEXT) | instid1(VALU_DEP_1)
	v_cmp_ge_f32_e64 s4, 0, v53
	v_cndmask_b32_e64 v3, v3, v51, s4
	s_delay_alu instid0(VALU_DEP_3) | instskip(NEXT) | instid1(VALU_DEP_1)
	v_cmp_lt_f32_e64 s4, 0, v54
	v_cndmask_b32_e64 v3, v3, v52, s4
	s_delay_alu instid0(VALU_DEP_1) | instskip(NEXT) | instid1(VALU_DEP_1)
	v_mul_f32_e32 v51, 0x37800000, v3
	v_cndmask_b32_e32 v51, v3, v51, vcc_lo
	v_cmp_class_f32_e64 vcc_lo, v50, 0x260
	s_delay_alu instid0(VALU_DEP_2) | instskip(NEXT) | instid1(VALU_DEP_1)
	v_dual_mul_f32 v3, v18, v48 :: v_dual_cndmask_b32 v48, v51, v50
	v_fmac_f32_e32 v3, s10, v7
	s_delay_alu instid0(VALU_DEP_2) | instskip(NEXT) | instid1(VALU_DEP_1)
	v_add_f32_e32 v7, v42, v48
	v_div_scale_f32 v48, null, v7, v7, v3
	s_delay_alu instid0(VALU_DEP_1) | instskip(SKIP_2) | instid1(VALU_DEP_1)
	v_rcp_f32_e32 v50, v48
	s_waitcnt_depctr 0xfff
	v_fma_f32 v51, -v48, v50, 1.0
	v_fmac_f32_e32 v50, v51, v50
	v_div_scale_f32 v51, vcc_lo, v3, v7, v3
	s_delay_alu instid0(VALU_DEP_1) | instskip(NEXT) | instid1(VALU_DEP_1)
	v_mul_f32_e32 v52, v51, v50
	v_fma_f32 v53, -v48, v52, v51
	s_delay_alu instid0(VALU_DEP_1) | instskip(NEXT) | instid1(VALU_DEP_1)
	v_fmac_f32_e32 v52, v53, v50
	v_fma_f32 v48, -v48, v52, v51
	s_delay_alu instid0(VALU_DEP_1) | instskip(SKIP_1) | instid1(VALU_DEP_2)
	v_div_fmas_f32 v50, v48, v50, v52
	v_lshlrev_b32_e32 v48, 16, v49
	v_div_fixup_f32 v7, v50, v7, v3
	s_delay_alu instid0(VALU_DEP_1) | instskip(NEXT) | instid1(VALU_DEP_1)
	v_fmac_f32_e32 v48, v43, v7
	v_and_b32_e32 v7, 0x7f800000, v48
	s_delay_alu instid0(VALU_DEP_1) | instskip(SKIP_1) | instid1(SALU_CYCLE_1)
	v_cmp_ne_u32_e32 vcc_lo, 0x7f800000, v7
                                        ; implicit-def: $vgpr7
	s_and_saveexec_b32 s4, vcc_lo
	s_xor_b32 s4, exec_lo, s4
	s_cbranch_execnz .LBB70_76
; %bb.69:                               ;   in Loop: Header=BB70_6 Depth=1
	s_and_not1_saveexec_b32 s4, s4
	s_cbranch_execnz .LBB70_77
.LBB70_70:                              ;   in Loop: Header=BB70_6 Depth=1
	s_or_b32 exec_lo, exec_lo, s4
	s_delay_alu instid0(SALU_CYCLE_1)
	s_and_not1_b32 vcc_lo, exec_lo, s14
	s_cbranch_vccnz .LBB70_78
.LBB70_71:                              ;   in Loop: Header=BB70_6 Depth=1
	s_delay_alu instid0(VALU_DEP_1) | instskip(NEXT) | instid1(VALU_DEP_1)
	v_and_b32_e32 v7, 0xffff0000, v7
	v_mul_f32_e32 v7, v44, v7
	s_delay_alu instid0(VALU_DEP_1) | instskip(NEXT) | instid1(VALU_DEP_1)
	v_and_b32_e32 v48, 0x7f800000, v7
	v_cmp_ne_u32_e32 vcc_lo, 0x7f800000, v48
                                        ; implicit-def: $vgpr48
	s_and_saveexec_b32 s4, vcc_lo
	s_delay_alu instid0(SALU_CYCLE_1)
	s_xor_b32 s4, exec_lo, s4
; %bb.72:                               ;   in Loop: Header=BB70_6 Depth=1
	v_bfe_u32 v48, v7, 16, 1
	s_delay_alu instid0(VALU_DEP_1)
	v_add3_u32 v48, v7, v48, 0x7fff
                                        ; implicit-def: $vgpr7
; %bb.73:                               ;   in Loop: Header=BB70_6 Depth=1
	s_and_not1_saveexec_b32 s4, s4
; %bb.74:                               ;   in Loop: Header=BB70_6 Depth=1
	v_and_b32_e32 v48, 0xffff, v7
	v_or_b32_e32 v49, 0x10000, v7
	s_delay_alu instid0(VALU_DEP_2) | instskip(NEXT) | instid1(VALU_DEP_2)
	v_cmp_eq_u32_e32 vcc_lo, 0, v48
	v_cndmask_b32_e32 v48, v49, v7, vcc_lo
; %bb.75:                               ;   in Loop: Header=BB70_6 Depth=1
	s_or_b32 exec_lo, exec_lo, s4
	s_delay_alu instid0(VALU_DEP_1)
	v_lshrrev_b32_e32 v49, 16, v48
	s_branch .LBB70_79
.LBB70_76:                              ;   in Loop: Header=BB70_6 Depth=1
	v_bfe_u32 v7, v48, 16, 1
	s_delay_alu instid0(VALU_DEP_1)
	v_add3_u32 v7, v48, v7, 0x7fff
                                        ; implicit-def: $vgpr48
	s_and_not1_saveexec_b32 s4, s4
	s_cbranch_execz .LBB70_70
.LBB70_77:                              ;   in Loop: Header=BB70_6 Depth=1
	v_and_b32_e32 v7, 0xffff, v48
	v_or_b32_e32 v49, 0x10000, v48
	s_delay_alu instid0(VALU_DEP_2) | instskip(NEXT) | instid1(VALU_DEP_2)
	v_cmp_eq_u32_e32 vcc_lo, 0, v7
	v_cndmask_b32_e32 v7, v49, v48, vcc_lo
	s_or_b32 exec_lo, exec_lo, s4
	s_delay_alu instid0(SALU_CYCLE_1)
	s_and_not1_b32 vcc_lo, exec_lo, s14
	s_cbranch_vccz .LBB70_71
.LBB70_78:                              ;   in Loop: Header=BB70_6 Depth=1
	s_delay_alu instid0(VALU_DEP_1)
	v_lshrrev_b32_e32 v49, 16, v7
.LBB70_79:                              ;   in Loop: Header=BB70_6 Depth=1
	v_mov_b32_e32 v7, v3
	v_mov_b32_e32 v3, v14
.LBB70_80:                              ;   in Loop: Header=BB70_6 Depth=1
	s_or_b32 exec_lo, exec_lo, s5
	v_lshrrev_b32_e32 v14, 16, v47
	v_mov_b32_e32 v50, v15
	s_delay_alu instid0(VALU_DEP_2) | instskip(NEXT) | instid1(VALU_DEP_1)
	v_and_b32_e32 v48, 0x7fff, v14
	v_cmp_ne_u16_e32 vcc_lo, 0, v48
	s_or_b32 s4, s15, vcc_lo
	s_delay_alu instid0(SALU_CYCLE_1)
	s_and_saveexec_b32 s5, s4
	s_cbranch_execz .LBB70_93
; %bb.81:                               ;   in Loop: Header=BB70_6 Depth=1
	v_and_b32_e32 v48, 0xffff0000, v47
	s_delay_alu instid0(VALU_DEP_1) | instskip(NEXT) | instid1(VALU_DEP_1)
	v_mul_f32_e32 v47, v48, v48
	v_mul_f32_e32 v47, v19, v47
	s_delay_alu instid0(VALU_DEP_1) | instskip(NEXT) | instid1(VALU_DEP_1)
	v_fmac_f32_e32 v47, s11, v0
	v_mul_f32_e32 v0, 0x4f800000, v47
	v_cmp_gt_f32_e32 vcc_lo, 0xf800000, v47
	s_delay_alu instid0(VALU_DEP_2) | instskip(NEXT) | instid1(VALU_DEP_1)
	v_cndmask_b32_e32 v50, v47, v0, vcc_lo
	v_sqrt_f32_e32 v0, v50
	s_waitcnt_depctr 0xfff
	v_add_nc_u32_e32 v51, -1, v0
	v_add_nc_u32_e32 v52, 1, v0
	s_delay_alu instid0(VALU_DEP_2) | instskip(NEXT) | instid1(VALU_DEP_2)
	v_fma_f32 v53, -v51, v0, v50
	v_fma_f32 v54, -v52, v0, v50
	s_delay_alu instid0(VALU_DEP_2) | instskip(NEXT) | instid1(VALU_DEP_1)
	v_cmp_ge_f32_e64 s4, 0, v53
	v_cndmask_b32_e64 v0, v0, v51, s4
	s_delay_alu instid0(VALU_DEP_3) | instskip(NEXT) | instid1(VALU_DEP_1)
	v_cmp_lt_f32_e64 s4, 0, v54
	v_cndmask_b32_e64 v0, v0, v52, s4
	s_delay_alu instid0(VALU_DEP_1) | instskip(NEXT) | instid1(VALU_DEP_1)
	v_mul_f32_e32 v51, 0x37800000, v0
	v_cndmask_b32_e32 v51, v0, v51, vcc_lo
	v_cmp_class_f32_e64 vcc_lo, v50, 0x260
	v_mul_f32_e32 v0, v18, v48
	s_delay_alu instid0(VALU_DEP_3) | instskip(NEXT) | instid1(VALU_DEP_2)
	v_cndmask_b32_e32 v48, v51, v50, vcc_lo
	v_fmac_f32_e32 v0, s10, v4
	s_delay_alu instid0(VALU_DEP_2) | instskip(NEXT) | instid1(VALU_DEP_1)
	v_add_f32_e32 v4, v42, v48
	v_div_scale_f32 v48, null, v4, v4, v0
	s_delay_alu instid0(VALU_DEP_1) | instskip(SKIP_2) | instid1(VALU_DEP_1)
	v_rcp_f32_e32 v50, v48
	s_waitcnt_depctr 0xfff
	v_fma_f32 v51, -v48, v50, 1.0
	v_fmac_f32_e32 v50, v51, v50
	v_div_scale_f32 v51, vcc_lo, v0, v4, v0
	s_delay_alu instid0(VALU_DEP_1) | instskip(NEXT) | instid1(VALU_DEP_1)
	v_mul_f32_e32 v52, v51, v50
	v_fma_f32 v53, -v48, v52, v51
	s_delay_alu instid0(VALU_DEP_1) | instskip(NEXT) | instid1(VALU_DEP_1)
	v_fmac_f32_e32 v52, v53, v50
	v_fma_f32 v48, -v48, v52, v51
	s_delay_alu instid0(VALU_DEP_1) | instskip(SKIP_1) | instid1(VALU_DEP_2)
	v_div_fmas_f32 v50, v48, v50, v52
	v_lshlrev_b32_e32 v48, 16, v15
	v_div_fixup_f32 v4, v50, v4, v0
	s_delay_alu instid0(VALU_DEP_1) | instskip(NEXT) | instid1(VALU_DEP_1)
	v_fmac_f32_e32 v48, v43, v4
	v_and_b32_e32 v4, 0x7f800000, v48
	s_delay_alu instid0(VALU_DEP_1) | instskip(SKIP_1) | instid1(SALU_CYCLE_1)
	v_cmp_ne_u32_e32 vcc_lo, 0x7f800000, v4
                                        ; implicit-def: $vgpr4
	s_and_saveexec_b32 s4, vcc_lo
	s_xor_b32 s4, exec_lo, s4
	s_cbranch_execnz .LBB70_89
; %bb.82:                               ;   in Loop: Header=BB70_6 Depth=1
	s_and_not1_saveexec_b32 s4, s4
	s_cbranch_execnz .LBB70_90
.LBB70_83:                              ;   in Loop: Header=BB70_6 Depth=1
	s_or_b32 exec_lo, exec_lo, s4
	s_delay_alu instid0(SALU_CYCLE_1)
	s_and_not1_b32 vcc_lo, exec_lo, s14
	s_cbranch_vccnz .LBB70_91
.LBB70_84:                              ;   in Loop: Header=BB70_6 Depth=1
	s_delay_alu instid0(VALU_DEP_1) | instskip(NEXT) | instid1(VALU_DEP_1)
	v_and_b32_e32 v4, 0xffff0000, v4
	v_mul_f32_e32 v4, v44, v4
	s_delay_alu instid0(VALU_DEP_1) | instskip(NEXT) | instid1(VALU_DEP_1)
	v_and_b32_e32 v48, 0x7f800000, v4
	v_cmp_ne_u32_e32 vcc_lo, 0x7f800000, v48
                                        ; implicit-def: $vgpr48
	s_and_saveexec_b32 s4, vcc_lo
	s_delay_alu instid0(SALU_CYCLE_1)
	s_xor_b32 s4, exec_lo, s4
; %bb.85:                               ;   in Loop: Header=BB70_6 Depth=1
	v_bfe_u32 v48, v4, 16, 1
	s_delay_alu instid0(VALU_DEP_1)
	v_add3_u32 v48, v4, v48, 0x7fff
                                        ; implicit-def: $vgpr4
; %bb.86:                               ;   in Loop: Header=BB70_6 Depth=1
	s_and_not1_saveexec_b32 s4, s4
; %bb.87:                               ;   in Loop: Header=BB70_6 Depth=1
	v_and_b32_e32 v48, 0xffff, v4
	v_or_b32_e32 v50, 0x10000, v4
	s_delay_alu instid0(VALU_DEP_2) | instskip(NEXT) | instid1(VALU_DEP_2)
	v_cmp_eq_u32_e32 vcc_lo, 0, v48
	v_cndmask_b32_e32 v48, v50, v4, vcc_lo
; %bb.88:                               ;   in Loop: Header=BB70_6 Depth=1
	s_or_b32 exec_lo, exec_lo, s4
	s_delay_alu instid0(VALU_DEP_1)
	v_lshrrev_b32_e32 v50, 16, v48
	s_branch .LBB70_92
.LBB70_89:                              ;   in Loop: Header=BB70_6 Depth=1
	v_bfe_u32 v4, v48, 16, 1
	s_delay_alu instid0(VALU_DEP_1)
	v_add3_u32 v4, v48, v4, 0x7fff
                                        ; implicit-def: $vgpr48
	s_and_not1_saveexec_b32 s4, s4
	s_cbranch_execz .LBB70_83
.LBB70_90:                              ;   in Loop: Header=BB70_6 Depth=1
	v_and_b32_e32 v4, 0xffff, v48
	v_or_b32_e32 v50, 0x10000, v48
	s_delay_alu instid0(VALU_DEP_2) | instskip(NEXT) | instid1(VALU_DEP_2)
	v_cmp_eq_u32_e32 vcc_lo, 0, v4
	v_cndmask_b32_e32 v4, v50, v48, vcc_lo
	s_or_b32 exec_lo, exec_lo, s4
	s_delay_alu instid0(SALU_CYCLE_1)
	s_and_not1_b32 vcc_lo, exec_lo, s14
	s_cbranch_vccz .LBB70_84
.LBB70_91:                              ;   in Loop: Header=BB70_6 Depth=1
	s_delay_alu instid0(VALU_DEP_1)
	v_lshrrev_b32_e32 v50, 16, v4
.LBB70_92:                              ;   in Loop: Header=BB70_6 Depth=1
	v_mov_b32_e32 v4, v0
	v_mov_b32_e32 v0, v47
.LBB70_93:                              ;   in Loop: Header=BB70_6 Depth=1
	s_or_b32 exec_lo, exec_lo, s5
	v_lshrrev_b32_e32 v48, 16, v45
	s_delay_alu instid0(VALU_DEP_1) | instskip(NEXT) | instid1(VALU_DEP_1)
	v_and_b32_e32 v47, 0x7fff, v48
	v_cmp_ne_u16_e32 vcc_lo, 0, v47
	v_lshrrev_b32_e32 v47, 16, v15
	s_or_b32 s4, s15, vcc_lo
	s_delay_alu instid0(SALU_CYCLE_1)
	s_and_saveexec_b32 s5, s4
	s_cbranch_execz .LBB70_106
; %bb.94:                               ;   in Loop: Header=BB70_6 Depth=1
	v_and_b32_e32 v45, 0xffff0000, v45
	s_delay_alu instid0(VALU_DEP_1) | instskip(NEXT) | instid1(VALU_DEP_1)
	v_mul_f32_e32 v15, v45, v45
	v_mul_f32_e32 v15, v19, v15
	s_delay_alu instid0(VALU_DEP_1) | instskip(NEXT) | instid1(VALU_DEP_1)
	v_fmac_f32_e32 v15, s11, v1
	v_mul_f32_e32 v1, 0x4f800000, v15
	v_cmp_gt_f32_e32 vcc_lo, 0xf800000, v15
	s_delay_alu instid0(VALU_DEP_2) | instskip(NEXT) | instid1(VALU_DEP_1)
	v_cndmask_b32_e32 v51, v15, v1, vcc_lo
	v_sqrt_f32_e32 v1, v51
	s_waitcnt_depctr 0xfff
	v_add_nc_u32_e32 v52, -1, v1
	v_add_nc_u32_e32 v53, 1, v1
	s_delay_alu instid0(VALU_DEP_2) | instskip(NEXT) | instid1(VALU_DEP_2)
	v_fma_f32 v54, -v52, v1, v51
	v_fma_f32 v55, -v53, v1, v51
	s_delay_alu instid0(VALU_DEP_2) | instskip(NEXT) | instid1(VALU_DEP_1)
	v_cmp_ge_f32_e64 s4, 0, v54
	v_cndmask_b32_e64 v1, v1, v52, s4
	s_delay_alu instid0(VALU_DEP_3) | instskip(NEXT) | instid1(VALU_DEP_1)
	v_cmp_lt_f32_e64 s4, 0, v55
	v_cndmask_b32_e64 v1, v1, v53, s4
	s_delay_alu instid0(VALU_DEP_1) | instskip(NEXT) | instid1(VALU_DEP_1)
	v_mul_f32_e32 v52, 0x37800000, v1
	v_cndmask_b32_e32 v52, v1, v52, vcc_lo
	v_cmp_class_f32_e64 vcc_lo, v51, 0x260
	v_mul_f32_e32 v1, v18, v45
	s_delay_alu instid0(VALU_DEP_3) | instskip(NEXT) | instid1(VALU_DEP_2)
	v_cndmask_b32_e32 v45, v52, v51, vcc_lo
	v_fmac_f32_e32 v1, s10, v5
	s_delay_alu instid0(VALU_DEP_2) | instskip(NEXT) | instid1(VALU_DEP_1)
	v_add_f32_e32 v5, v42, v45
	v_div_scale_f32 v45, null, v5, v5, v1
	s_delay_alu instid0(VALU_DEP_1) | instskip(SKIP_2) | instid1(VALU_DEP_1)
	v_rcp_f32_e32 v51, v45
	s_waitcnt_depctr 0xfff
	v_fma_f32 v52, -v45, v51, 1.0
	v_fmac_f32_e32 v51, v52, v51
	v_div_scale_f32 v52, vcc_lo, v1, v5, v1
	s_delay_alu instid0(VALU_DEP_1) | instskip(NEXT) | instid1(VALU_DEP_1)
	v_mul_f32_e32 v53, v52, v51
	v_fma_f32 v54, -v45, v53, v52
	s_delay_alu instid0(VALU_DEP_1) | instskip(NEXT) | instid1(VALU_DEP_1)
	v_fmac_f32_e32 v53, v54, v51
	v_fma_f32 v45, -v45, v53, v52
	s_delay_alu instid0(VALU_DEP_1) | instskip(SKIP_1) | instid1(VALU_DEP_2)
	v_div_fmas_f32 v51, v45, v51, v53
	v_lshlrev_b32_e32 v45, 16, v47
	v_div_fixup_f32 v5, v51, v5, v1
	s_delay_alu instid0(VALU_DEP_1) | instskip(NEXT) | instid1(VALU_DEP_1)
	v_fmac_f32_e32 v45, v43, v5
	v_and_b32_e32 v5, 0x7f800000, v45
	s_delay_alu instid0(VALU_DEP_1) | instskip(SKIP_1) | instid1(SALU_CYCLE_1)
	v_cmp_ne_u32_e32 vcc_lo, 0x7f800000, v5
                                        ; implicit-def: $vgpr5
	s_and_saveexec_b32 s4, vcc_lo
	s_xor_b32 s4, exec_lo, s4
	s_cbranch_execnz .LBB70_102
; %bb.95:                               ;   in Loop: Header=BB70_6 Depth=1
	s_and_not1_saveexec_b32 s4, s4
	s_cbranch_execnz .LBB70_103
.LBB70_96:                              ;   in Loop: Header=BB70_6 Depth=1
	s_or_b32 exec_lo, exec_lo, s4
	s_delay_alu instid0(SALU_CYCLE_1)
	s_and_not1_b32 vcc_lo, exec_lo, s14
	s_cbranch_vccnz .LBB70_104
.LBB70_97:                              ;   in Loop: Header=BB70_6 Depth=1
	s_delay_alu instid0(VALU_DEP_1) | instskip(NEXT) | instid1(VALU_DEP_1)
	v_and_b32_e32 v5, 0xffff0000, v5
	v_mul_f32_e32 v5, v44, v5
	s_delay_alu instid0(VALU_DEP_1) | instskip(NEXT) | instid1(VALU_DEP_1)
	v_and_b32_e32 v45, 0x7f800000, v5
	v_cmp_ne_u32_e32 vcc_lo, 0x7f800000, v45
                                        ; implicit-def: $vgpr45
	s_and_saveexec_b32 s4, vcc_lo
	s_delay_alu instid0(SALU_CYCLE_1)
	s_xor_b32 s4, exec_lo, s4
; %bb.98:                               ;   in Loop: Header=BB70_6 Depth=1
	v_bfe_u32 v45, v5, 16, 1
	s_delay_alu instid0(VALU_DEP_1)
	v_add3_u32 v45, v5, v45, 0x7fff
                                        ; implicit-def: $vgpr5
; %bb.99:                               ;   in Loop: Header=BB70_6 Depth=1
	s_and_not1_saveexec_b32 s4, s4
; %bb.100:                              ;   in Loop: Header=BB70_6 Depth=1
	v_and_b32_e32 v45, 0xffff, v5
	v_or_b32_e32 v47, 0x10000, v5
	s_delay_alu instid0(VALU_DEP_2) | instskip(NEXT) | instid1(VALU_DEP_2)
	v_cmp_eq_u32_e32 vcc_lo, 0, v45
	v_cndmask_b32_e32 v45, v47, v5, vcc_lo
; %bb.101:                              ;   in Loop: Header=BB70_6 Depth=1
	s_or_b32 exec_lo, exec_lo, s4
	s_delay_alu instid0(VALU_DEP_1)
	v_lshrrev_b32_e32 v47, 16, v45
	s_branch .LBB70_105
.LBB70_102:                             ;   in Loop: Header=BB70_6 Depth=1
	v_bfe_u32 v5, v45, 16, 1
	s_delay_alu instid0(VALU_DEP_1)
	v_add3_u32 v5, v45, v5, 0x7fff
                                        ; implicit-def: $vgpr45
	s_and_not1_saveexec_b32 s4, s4
	s_cbranch_execz .LBB70_96
.LBB70_103:                             ;   in Loop: Header=BB70_6 Depth=1
	v_and_b32_e32 v5, 0xffff, v45
	v_or_b32_e32 v47, 0x10000, v45
	s_delay_alu instid0(VALU_DEP_2) | instskip(NEXT) | instid1(VALU_DEP_2)
	v_cmp_eq_u32_e32 vcc_lo, 0, v5
	v_cndmask_b32_e32 v5, v47, v45, vcc_lo
	s_or_b32 exec_lo, exec_lo, s4
	s_delay_alu instid0(SALU_CYCLE_1)
	s_and_not1_b32 vcc_lo, exec_lo, s14
	s_cbranch_vccz .LBB70_97
.LBB70_104:                             ;   in Loop: Header=BB70_6 Depth=1
	s_delay_alu instid0(VALU_DEP_1)
	v_lshrrev_b32_e32 v47, 16, v5
.LBB70_105:                             ;   in Loop: Header=BB70_6 Depth=1
	v_mov_b32_e32 v5, v1
	v_mov_b32_e32 v1, v15
.LBB70_106:                             ;   in Loop: Header=BB70_6 Depth=1
	s_or_b32 exec_lo, exec_lo, s5
	s_delay_alu instid0(VALU_DEP_1)
	v_perm_b32 v47, v47, v50, 0x5040100
	v_perm_b32 v46, v49, v46, 0x5040100
	s_barrier
	buffer_gl0_inv
	ds_store_b64 v34, v[46:47]
	; wave barrier
	ds_load_u16 v47, v33
	ds_load_u16 v46, v38
	;; [unrolled: 1-line block ×4, first 2 shown]
	s_and_saveexec_b32 s4, s0
	s_delay_alu instid0(SALU_CYCLE_1)
	s_xor_b32 s4, exec_lo, s4
	s_cbranch_execnz .LBB70_120
; %bb.107:                              ;   in Loop: Header=BB70_6 Depth=1
	s_or_b32 exec_lo, exec_lo, s4
	s_and_saveexec_b32 s4, s1
	s_cbranch_execnz .LBB70_121
.LBB70_108:                             ;   in Loop: Header=BB70_6 Depth=1
	s_or_b32 exec_lo, exec_lo, s4
	s_and_saveexec_b32 s4, s2
	s_cbranch_execnz .LBB70_122
.LBB70_109:                             ;   in Loop: Header=BB70_6 Depth=1
	s_or_b32 exec_lo, exec_lo, s4
	s_and_saveexec_b32 s4, s3
	s_cbranch_execz .LBB70_111
.LBB70_110:                             ;   in Loop: Header=BB70_6 Depth=1
	s_waitcnt lgkmcnt(0)
	global_store_b16 v[12:13], v15, off offset:192
.LBB70_111:                             ;   in Loop: Header=BB70_6 Depth=1
	s_or_b32 exec_lo, exec_lo, s4
	s_waitcnt lgkmcnt(0)
	s_waitcnt_vscnt null, 0x0
	s_barrier
	buffer_gl0_inv
	ds_store_2addr_b32 v28, v6, v7 offset1:1
	ds_store_2addr_b32 v28, v4, v5 offset0:2 offset1:3
	; wave barrier
	ds_load_b32 v4, v35
	ds_load_b32 v5, v36
	ds_load_b32 v6, v41
	ds_load_b32 v7, v37
	s_and_saveexec_b32 s4, s0
	s_cbranch_execnz .LBB70_123
; %bb.112:                              ;   in Loop: Header=BB70_6 Depth=1
	s_or_b32 exec_lo, exec_lo, s4
	s_and_saveexec_b32 s4, s1
	s_cbranch_execnz .LBB70_124
.LBB70_113:                             ;   in Loop: Header=BB70_6 Depth=1
	s_or_b32 exec_lo, exec_lo, s4
	s_and_saveexec_b32 s4, s2
	s_cbranch_execnz .LBB70_125
.LBB70_114:                             ;   in Loop: Header=BB70_6 Depth=1
	s_or_b32 exec_lo, exec_lo, s4
	s_and_saveexec_b32 s4, s3
	s_cbranch_execz .LBB70_116
.LBB70_115:                             ;   in Loop: Header=BB70_6 Depth=1
	s_waitcnt lgkmcnt(0)
	global_store_b32 v[8:9], v7, off offset:384
.LBB70_116:                             ;   in Loop: Header=BB70_6 Depth=1
	s_or_b32 exec_lo, exec_lo, s4
	s_waitcnt lgkmcnt(0)
	s_waitcnt_vscnt null, 0x0
	s_barrier
	buffer_gl0_inv
	ds_store_2addr_b32 v28, v2, v3 offset1:1
	ds_store_2addr_b32 v28, v0, v1 offset0:2 offset1:3
	; wave barrier
	ds_load_b32 v0, v35
	ds_load_b32 v1, v36
	;; [unrolled: 1-line block ×4, first 2 shown]
	s_and_saveexec_b32 s4, s0
	s_cbranch_execnz .LBB70_126
; %bb.117:                              ;   in Loop: Header=BB70_6 Depth=1
	s_or_b32 exec_lo, exec_lo, s4
	s_and_saveexec_b32 s0, s1
	s_cbranch_execnz .LBB70_127
.LBB70_118:                             ;   in Loop: Header=BB70_6 Depth=1
	s_or_b32 exec_lo, exec_lo, s0
	s_and_saveexec_b32 s0, s2
	s_cbranch_execnz .LBB70_128
.LBB70_119:                             ;   in Loop: Header=BB70_6 Depth=1
	s_or_b32 exec_lo, exec_lo, s0
	s_and_saveexec_b32 s0, s3
	s_cbranch_execz .LBB70_5
	s_branch .LBB70_129
.LBB70_120:                             ;   in Loop: Header=BB70_6 Depth=1
	s_waitcnt lgkmcnt(3)
	global_store_b16 v[12:13], v47, off
	s_or_b32 exec_lo, exec_lo, s4
	s_and_saveexec_b32 s4, s1
	s_cbranch_execz .LBB70_108
.LBB70_121:                             ;   in Loop: Header=BB70_6 Depth=1
	s_waitcnt lgkmcnt(2)
	global_store_b16 v[12:13], v46, off offset:64
	s_or_b32 exec_lo, exec_lo, s4
	s_and_saveexec_b32 s4, s2
	s_cbranch_execz .LBB70_109
.LBB70_122:                             ;   in Loop: Header=BB70_6 Depth=1
	s_waitcnt lgkmcnt(1)
	global_store_b16 v[12:13], v45, off offset:128
	s_or_b32 exec_lo, exec_lo, s4
	s_and_saveexec_b32 s4, s3
	s_cbranch_execnz .LBB70_110
	s_branch .LBB70_111
.LBB70_123:                             ;   in Loop: Header=BB70_6 Depth=1
	s_waitcnt lgkmcnt(3)
	global_store_b32 v[8:9], v4, off
	s_or_b32 exec_lo, exec_lo, s4
	s_and_saveexec_b32 s4, s1
	s_cbranch_execz .LBB70_113
.LBB70_124:                             ;   in Loop: Header=BB70_6 Depth=1
	s_waitcnt lgkmcnt(2)
	global_store_b32 v[8:9], v5, off offset:128
	s_or_b32 exec_lo, exec_lo, s4
	s_and_saveexec_b32 s4, s2
	s_cbranch_execz .LBB70_114
.LBB70_125:                             ;   in Loop: Header=BB70_6 Depth=1
	s_waitcnt lgkmcnt(1)
	global_store_b32 v[8:9], v6, off offset:256
	s_or_b32 exec_lo, exec_lo, s4
	s_and_saveexec_b32 s4, s3
	s_cbranch_execnz .LBB70_115
	s_branch .LBB70_116
.LBB70_126:                             ;   in Loop: Header=BB70_6 Depth=1
	s_waitcnt lgkmcnt(3)
	global_store_b32 v[10:11], v0, off
	s_or_b32 exec_lo, exec_lo, s4
	s_and_saveexec_b32 s0, s1
	s_cbranch_execz .LBB70_118
.LBB70_127:                             ;   in Loop: Header=BB70_6 Depth=1
	s_waitcnt lgkmcnt(2)
	global_store_b32 v[10:11], v1, off offset:128
	s_or_b32 exec_lo, exec_lo, s0
	s_and_saveexec_b32 s0, s2
	s_cbranch_execz .LBB70_119
.LBB70_128:                             ;   in Loop: Header=BB70_6 Depth=1
	s_waitcnt lgkmcnt(1)
	global_store_b32 v[10:11], v2, off offset:256
	s_or_b32 exec_lo, exec_lo, s0
	s_and_saveexec_b32 s0, s3
	s_cbranch_execz .LBB70_5
.LBB70_129:                             ;   in Loop: Header=BB70_6 Depth=1
	s_waitcnt lgkmcnt(0)
	global_store_b32 v[10:11], v3, off offset:384
	s_branch .LBB70_5
.LBB70_130:
	s_nop 0
	s_sendmsg sendmsg(MSG_DEALLOC_VGPRS)
	s_endpgm
	.section	.rodata,"a",@progbits
	.p2align	6, 0x0
	.amdhsa_kernel _Z21kOptimizer32bit2StateI12hip_bfloat16Li0EEvPT_S2_PfS3_S3_ffffffffiffbi
		.amdhsa_group_segment_fixed_size 16896
		.amdhsa_private_segment_fixed_size 0
		.amdhsa_kernarg_size 352
		.amdhsa_user_sgpr_count 15
		.amdhsa_user_sgpr_dispatch_ptr 0
		.amdhsa_user_sgpr_queue_ptr 0
		.amdhsa_user_sgpr_kernarg_segment_ptr 1
		.amdhsa_user_sgpr_dispatch_id 0
		.amdhsa_user_sgpr_private_segment_size 0
		.amdhsa_wavefront_size32 1
		.amdhsa_uses_dynamic_stack 0
		.amdhsa_enable_private_segment 0
		.amdhsa_system_sgpr_workgroup_id_x 1
		.amdhsa_system_sgpr_workgroup_id_y 0
		.amdhsa_system_sgpr_workgroup_id_z 0
		.amdhsa_system_sgpr_workgroup_info 0
		.amdhsa_system_vgpr_workitem_id 0
		.amdhsa_next_free_vgpr 56
		.amdhsa_next_free_sgpr 28
		.amdhsa_reserve_vcc 1
		.amdhsa_float_round_mode_32 0
		.amdhsa_float_round_mode_16_64 0
		.amdhsa_float_denorm_mode_32 3
		.amdhsa_float_denorm_mode_16_64 3
		.amdhsa_dx10_clamp 1
		.amdhsa_ieee_mode 1
		.amdhsa_fp16_overflow 0
		.amdhsa_workgroup_processor_mode 1
		.amdhsa_memory_ordered 1
		.amdhsa_forward_progress 0
		.amdhsa_shared_vgpr_count 0
		.amdhsa_exception_fp_ieee_invalid_op 0
		.amdhsa_exception_fp_denorm_src 0
		.amdhsa_exception_fp_ieee_div_zero 0
		.amdhsa_exception_fp_ieee_overflow 0
		.amdhsa_exception_fp_ieee_underflow 0
		.amdhsa_exception_fp_ieee_inexact 0
		.amdhsa_exception_int_div_zero 0
	.end_amdhsa_kernel
	.section	.text._Z21kOptimizer32bit2StateI12hip_bfloat16Li0EEvPT_S2_PfS3_S3_ffffffffiffbi,"axG",@progbits,_Z21kOptimizer32bit2StateI12hip_bfloat16Li0EEvPT_S2_PfS3_S3_ffffffffiffbi,comdat
.Lfunc_end70:
	.size	_Z21kOptimizer32bit2StateI12hip_bfloat16Li0EEvPT_S2_PfS3_S3_ffffffffiffbi, .Lfunc_end70-_Z21kOptimizer32bit2StateI12hip_bfloat16Li0EEvPT_S2_PfS3_S3_ffffffffiffbi
                                        ; -- End function
	.section	.AMDGPU.csdata,"",@progbits
; Kernel info:
; codeLenInByte = 7628
; NumSgprs: 30
; NumVgprs: 56
; ScratchSize: 0
; MemoryBound: 0
; FloatMode: 240
; IeeeMode: 1
; LDSByteSize: 16896 bytes/workgroup (compile time only)
; SGPRBlocks: 3
; VGPRBlocks: 6
; NumSGPRsForWavesPerEU: 30
; NumVGPRsForWavesPerEU: 56
; Occupancy: 16
; WaveLimiterHint : 0
; COMPUTE_PGM_RSRC2:SCRATCH_EN: 0
; COMPUTE_PGM_RSRC2:USER_SGPR: 15
; COMPUTE_PGM_RSRC2:TRAP_HANDLER: 0
; COMPUTE_PGM_RSRC2:TGID_X_EN: 1
; COMPUTE_PGM_RSRC2:TGID_Y_EN: 0
; COMPUTE_PGM_RSRC2:TGID_Z_EN: 0
; COMPUTE_PGM_RSRC2:TIDIG_COMP_CNT: 0
	.section	.text._Z21kOptimizer32bit2StateIfLi6EEvPT_S1_PfS2_S2_ffffffffiffbi,"axG",@progbits,_Z21kOptimizer32bit2StateIfLi6EEvPT_S1_PfS2_S2_ffffffffiffbi,comdat
